;; amdgpu-corpus repo=ROCm/rocFFT kind=compiled arch=gfx1030 opt=O3
	.text
	.amdgcn_target "amdgcn-amd-amdhsa--gfx1030"
	.amdhsa_code_object_version 6
	.protected	fft_rtc_back_len121_factors_11_11_wgs_121_tpt_11_half_ip_CI_sbcc_twdbase5_3step ; -- Begin function fft_rtc_back_len121_factors_11_11_wgs_121_tpt_11_half_ip_CI_sbcc_twdbase5_3step
	.globl	fft_rtc_back_len121_factors_11_11_wgs_121_tpt_11_half_ip_CI_sbcc_twdbase5_3step
	.p2align	8
	.type	fft_rtc_back_len121_factors_11_11_wgs_121_tpt_11_half_ip_CI_sbcc_twdbase5_3step,@function
fft_rtc_back_len121_factors_11_11_wgs_121_tpt_11_half_ip_CI_sbcc_twdbase5_3step: ; @fft_rtc_back_len121_factors_11_11_wgs_121_tpt_11_half_ip_CI_sbcc_twdbase5_3step
; %bb.0:
	s_load_dwordx8 s[8:15], s[4:5], 0x8
	s_mov_b32 s0, exec_lo
	v_cmpx_gt_u32_e32 0x60, v0
	s_cbranch_execz .LBB0_2
; %bb.1:
	v_lshlrev_b32_e32 v1, 2, v0
	s_waitcnt lgkmcnt(0)
	global_load_dword v2, v1, s[8:9]
	v_add_nc_u32_e32 v1, 0, v1
	s_waitcnt vmcnt(0)
	ds_write_b32 v1, v2 offset:5324
.LBB0_2:
	s_or_b32 exec_lo, exec_lo, s0
	s_waitcnt lgkmcnt(0)
	s_load_dwordx2 s[18:19], s[12:13], 0x8
	s_mov_b64 s[22:23], 0
	s_waitcnt lgkmcnt(0)
	s_add_u32 s0, s18, -1
	s_addc_u32 s1, s19, -1
	s_add_u32 s2, 0, 0x5d161400
	s_addc_u32 s3, 0, 0x54
	s_mul_hi_u32 s8, s2, -11
	s_add_i32 s3, s3, 0x1745d120
	s_sub_i32 s8, s8, s2
	s_mul_i32 s16, s3, -11
	s_mul_i32 s7, s2, -11
	s_add_i32 s8, s8, s16
	s_mul_hi_u32 s9, s2, s7
	s_mul_i32 s20, s2, s8
	s_mul_hi_u32 s16, s2, s8
	s_mul_hi_u32 s17, s3, s7
	s_mul_i32 s7, s3, s7
	s_add_u32 s9, s9, s20
	s_addc_u32 s16, 0, s16
	s_mul_hi_u32 s21, s3, s8
	s_add_u32 s7, s9, s7
	s_mul_i32 s8, s3, s8
	s_addc_u32 s7, s16, s17
	s_addc_u32 s9, s21, 0
	s_add_u32 s7, s7, s8
	v_add_co_u32 v1, s2, s2, s7
	s_addc_u32 s7, 0, s9
	s_cmp_lg_u32 s2, 0
	s_addc_u32 s2, s3, s7
	v_readfirstlane_b32 s3, v1
	s_mul_i32 s8, s0, s2
	s_mul_hi_u32 s7, s0, s2
	s_mul_hi_u32 s9, s1, s2
	s_mul_i32 s2, s1, s2
	s_mul_hi_u32 s16, s0, s3
	s_mul_hi_u32 s17, s1, s3
	s_mul_i32 s3, s1, s3
	s_add_u32 s8, s16, s8
	s_addc_u32 s7, 0, s7
	s_add_u32 s3, s8, s3
	s_addc_u32 s3, s7, s17
	s_addc_u32 s7, s9, 0
	s_add_u32 s2, s3, s2
	s_addc_u32 s3, 0, s7
	s_mul_i32 s8, s2, 11
	s_add_u32 s7, s2, 1
	v_sub_co_u32 v1, s0, s0, s8
	s_mul_hi_u32 s8, s2, 11
	s_addc_u32 s9, s3, 0
	s_mul_i32 s16, s3, 11
	v_sub_co_u32 v2, s17, v1, 11
	s_add_u32 s20, s2, 2
	s_addc_u32 s21, s3, 0
	s_add_i32 s8, s8, s16
	s_cmp_lg_u32 s0, 0
	v_readfirstlane_b32 s0, v2
	s_subb_u32 s1, s1, s8
	s_cmp_lg_u32 s17, 0
	s_subb_u32 s8, s1, 0
	s_cmp_gt_u32 s0, 10
	s_cselect_b32 s0, -1, 0
	s_cmp_eq_u32 s8, 0
	v_readfirstlane_b32 s8, v1
	s_cselect_b32 s0, s0, -1
	s_cmp_lg_u32 s0, 0
	s_cselect_b32 s0, s20, s7
	s_cselect_b32 s9, s21, s9
	s_cmp_gt_u32 s8, 10
	s_cselect_b32 s7, -1, 0
	s_cmp_eq_u32 s1, 0
	s_cselect_b32 s1, s7, -1
	s_mov_b32 s7, 0
	s_cmp_lg_u32 s1, 0
	s_cselect_b32 s0, s0, s2
	s_cselect_b32 s1, s9, s3
	s_add_u32 s20, s0, 1
	s_addc_u32 s21, s1, 0
	v_cmp_lt_u64_e64 s0, s[6:7], s[20:21]
	s_and_b32 vcc_lo, exec_lo, s0
	s_cbranch_vccnz .LBB0_4
; %bb.3:
	v_cvt_f32_u32_e32 v1, s20
	s_sub_i32 s1, 0, s20
	s_mov_b32 s23, s7
	v_rcp_iflag_f32_e32 v1, v1
	v_mul_f32_e32 v1, 0x4f7ffffe, v1
	v_cvt_u32_f32_e32 v1, v1
	v_readfirstlane_b32 s0, v1
	s_mul_i32 s1, s1, s0
	s_mul_hi_u32 s1, s0, s1
	s_add_i32 s0, s0, s1
	s_mul_hi_u32 s0, s6, s0
	s_mul_i32 s1, s0, s20
	s_add_i32 s2, s0, 1
	s_sub_i32 s1, s6, s1
	s_sub_i32 s3, s1, s20
	s_cmp_ge_u32 s1, s20
	s_cselect_b32 s0, s2, s0
	s_cselect_b32 s1, s3, s1
	s_add_i32 s2, s0, 1
	s_cmp_ge_u32 s1, s20
	s_cselect_b32 s22, s2, s0
.LBB0_4:
	s_load_dwordx4 s[0:3], s[14:15], 0x0
	s_clause 0x1
	s_load_dwordx2 s[8:9], s[4:5], 0x58
	s_load_dwordx2 s[16:17], s[4:5], 0x0
	s_mul_i32 s4, s22, s21
	s_mul_hi_u32 s5, s22, s20
	s_mul_i32 s24, s22, s20
	s_add_i32 s5, s5, s4
	s_sub_u32 s34, s6, s24
	s_subb_u32 s4, 0, s5
	s_mul_hi_u32 s33, s34, 11
	s_mul_i32 s4, s4, 11
	v_cmp_lt_u64_e64 s25, s[10:11], 3
	s_mul_i32 s34, s34, 11
	s_add_i32 s33, s33, s4
	s_and_b32 vcc_lo, exec_lo, s25
	s_waitcnt lgkmcnt(0)
	s_mul_i32 s4, s2, s33
	s_mul_hi_u32 s5, s2, s34
	s_mul_i32 s24, s3, s34
	s_add_i32 s4, s5, s4
	s_mul_i32 s35, s2, s34
	s_add_i32 s36, s4, s24
	s_cbranch_vccnz .LBB0_14
; %bb.5:
	s_add_u32 s4, s14, 16
	s_addc_u32 s5, s15, 0
	s_add_u32 s12, s12, 16
	s_addc_u32 s13, s13, 0
	s_mov_b64 s[24:25], 2
	s_mov_b32 s26, 0
.LBB0_6:                                ; =>This Inner Loop Header: Depth=1
	s_load_dwordx2 s[28:29], s[12:13], 0x0
	s_waitcnt lgkmcnt(0)
	s_or_b64 s[30:31], s[22:23], s[28:29]
	s_mov_b32 s27, s31
                                        ; implicit-def: $sgpr30_sgpr31
	s_cmp_lg_u64 s[26:27], 0
	s_mov_b32 s27, -1
	s_cbranch_scc0 .LBB0_8
; %bb.7:                                ;   in Loop: Header=BB0_6 Depth=1
	v_cvt_f32_u32_e32 v1, s28
	v_cvt_f32_u32_e32 v2, s29
	s_sub_u32 s31, 0, s28
	s_subb_u32 s37, 0, s29
	v_fmac_f32_e32 v1, 0x4f800000, v2
	v_rcp_f32_e32 v1, v1
	v_mul_f32_e32 v1, 0x5f7ffffc, v1
	v_mul_f32_e32 v2, 0x2f800000, v1
	v_trunc_f32_e32 v2, v2
	v_fmac_f32_e32 v1, 0xcf800000, v2
	v_cvt_u32_f32_e32 v2, v2
	v_cvt_u32_f32_e32 v1, v1
	v_readfirstlane_b32 s27, v2
	v_readfirstlane_b32 s30, v1
	s_mul_i32 s38, s31, s27
	s_mul_hi_u32 s40, s31, s30
	s_mul_i32 s39, s37, s30
	s_add_i32 s38, s40, s38
	s_mul_i32 s41, s31, s30
	s_add_i32 s38, s38, s39
	s_mul_hi_u32 s40, s30, s41
	s_mul_hi_u32 s42, s27, s41
	s_mul_i32 s39, s27, s41
	s_mul_hi_u32 s41, s30, s38
	s_mul_i32 s30, s30, s38
	s_mul_hi_u32 s43, s27, s38
	s_add_u32 s30, s40, s30
	s_addc_u32 s40, 0, s41
	s_add_u32 s30, s30, s39
	s_mul_i32 s38, s27, s38
	s_addc_u32 s30, s40, s42
	s_addc_u32 s39, s43, 0
	s_add_u32 s30, s30, s38
	s_addc_u32 s38, 0, s39
	v_add_co_u32 v1, s30, v1, s30
	s_cmp_lg_u32 s30, 0
	s_addc_u32 s27, s27, s38
	v_readfirstlane_b32 s30, v1
	s_mul_i32 s38, s31, s27
	s_mul_hi_u32 s39, s31, s30
	s_mul_i32 s37, s37, s30
	s_add_i32 s38, s39, s38
	s_mul_i32 s31, s31, s30
	s_add_i32 s38, s38, s37
	s_mul_hi_u32 s39, s27, s31
	s_mul_i32 s40, s27, s31
	s_mul_hi_u32 s31, s30, s31
	s_mul_hi_u32 s41, s30, s38
	s_mul_i32 s30, s30, s38
	s_mul_hi_u32 s37, s27, s38
	s_add_u32 s30, s31, s30
	s_addc_u32 s31, 0, s41
	s_add_u32 s30, s30, s40
	s_mul_i32 s38, s27, s38
	s_addc_u32 s30, s31, s39
	s_addc_u32 s31, s37, 0
	s_add_u32 s30, s30, s38
	s_addc_u32 s31, 0, s31
	v_add_co_u32 v1, s30, v1, s30
	s_cmp_lg_u32 s30, 0
	s_addc_u32 s27, s27, s31
	v_readfirstlane_b32 s30, v1
	s_mul_i32 s37, s22, s27
	s_mul_hi_u32 s31, s22, s27
	s_mul_hi_u32 s38, s23, s27
	s_mul_i32 s27, s23, s27
	s_mul_hi_u32 s39, s22, s30
	s_mul_hi_u32 s40, s23, s30
	s_mul_i32 s30, s23, s30
	s_add_u32 s37, s39, s37
	s_addc_u32 s31, 0, s31
	s_add_u32 s30, s37, s30
	s_addc_u32 s30, s31, s40
	s_addc_u32 s31, s38, 0
	s_add_u32 s30, s30, s27
	s_addc_u32 s31, 0, s31
	s_mul_hi_u32 s27, s28, s30
	s_mul_i32 s38, s28, s31
	s_mul_i32 s39, s28, s30
	s_add_i32 s27, s27, s38
	v_sub_co_u32 v1, s38, s22, s39
	s_mul_i32 s37, s29, s30
	s_add_i32 s27, s27, s37
	v_sub_co_u32 v2, s39, v1, s28
	s_sub_i32 s37, s23, s27
	s_cmp_lg_u32 s38, 0
	s_subb_u32 s37, s37, s29
	s_cmp_lg_u32 s39, 0
	v_readfirstlane_b32 s39, v2
	s_subb_u32 s37, s37, 0
	s_cmp_ge_u32 s37, s29
	s_cselect_b32 s40, -1, 0
	s_cmp_ge_u32 s39, s28
	s_cselect_b32 s39, -1, 0
	s_cmp_eq_u32 s37, s29
	s_cselect_b32 s37, s39, s40
	s_add_u32 s39, s30, 1
	s_addc_u32 s40, s31, 0
	s_add_u32 s41, s30, 2
	s_addc_u32 s42, s31, 0
	s_cmp_lg_u32 s37, 0
	s_cselect_b32 s37, s41, s39
	s_cselect_b32 s39, s42, s40
	s_cmp_lg_u32 s38, 0
	v_readfirstlane_b32 s38, v1
	s_subb_u32 s27, s23, s27
	s_cmp_ge_u32 s27, s29
	s_cselect_b32 s40, -1, 0
	s_cmp_ge_u32 s38, s28
	s_cselect_b32 s38, -1, 0
	s_cmp_eq_u32 s27, s29
	s_cselect_b32 s27, s38, s40
	s_cmp_lg_u32 s27, 0
	s_mov_b32 s27, 0
	s_cselect_b32 s31, s39, s31
	s_cselect_b32 s30, s37, s30
.LBB0_8:                                ;   in Loop: Header=BB0_6 Depth=1
	s_andn2_b32 vcc_lo, exec_lo, s27
	s_cbranch_vccnz .LBB0_10
; %bb.9:                                ;   in Loop: Header=BB0_6 Depth=1
	v_cvt_f32_u32_e32 v1, s28
	s_sub_i32 s30, 0, s28
	v_rcp_iflag_f32_e32 v1, v1
	v_mul_f32_e32 v1, 0x4f7ffffe, v1
	v_cvt_u32_f32_e32 v1, v1
	v_readfirstlane_b32 s27, v1
	s_mul_i32 s30, s30, s27
	s_mul_hi_u32 s30, s27, s30
	s_add_i32 s27, s27, s30
	s_mul_hi_u32 s27, s22, s27
	s_mul_i32 s30, s27, s28
	s_add_i32 s31, s27, 1
	s_sub_i32 s30, s22, s30
	s_sub_i32 s37, s30, s28
	s_cmp_ge_u32 s30, s28
	s_cselect_b32 s27, s31, s27
	s_cselect_b32 s30, s37, s30
	s_add_i32 s31, s27, 1
	s_cmp_ge_u32 s30, s28
	s_cselect_b32 s30, s31, s27
	s_mov_b32 s31, s26
.LBB0_10:                               ;   in Loop: Header=BB0_6 Depth=1
	s_load_dwordx2 s[38:39], s[4:5], 0x0
	s_mul_i32 s21, s28, s21
	s_mul_hi_u32 s27, s28, s20
	s_mul_i32 s37, s29, s20
	s_mul_i32 s29, s30, s29
	s_mul_hi_u32 s40, s30, s28
	s_mul_i32 s41, s31, s28
	s_add_i32 s21, s27, s21
	s_add_i32 s27, s40, s29
	s_mul_i32 s42, s30, s28
	s_add_i32 s21, s21, s37
	s_add_i32 s27, s27, s41
	s_sub_u32 s22, s22, s42
	s_subb_u32 s23, s23, s27
	s_mul_i32 s20, s28, s20
	s_waitcnt lgkmcnt(0)
	s_mul_i32 s23, s38, s23
	s_mul_hi_u32 s27, s38, s22
	s_add_i32 s23, s27, s23
	s_mul_i32 s27, s39, s22
	s_mul_i32 s22, s38, s22
	s_add_i32 s23, s23, s27
	s_add_u32 s35, s22, s35
	s_addc_u32 s36, s23, s36
	s_add_u32 s24, s24, 1
	s_addc_u32 s25, s25, 0
	s_add_u32 s4, s4, 8
	v_cmp_ge_u64_e64 s22, s[24:25], s[10:11]
	s_addc_u32 s5, s5, 0
	s_add_u32 s12, s12, 8
	s_addc_u32 s13, s13, 0
	s_and_b32 vcc_lo, exec_lo, s22
	s_cbranch_vccnz .LBB0_12
; %bb.11:                               ;   in Loop: Header=BB0_6 Depth=1
	s_mov_b64 s[22:23], s[30:31]
	s_branch .LBB0_6
.LBB0_12:
	v_cmp_lt_u64_e64 s4, s[6:7], s[20:21]
	s_mov_b64 s[22:23], 0
	s_and_b32 vcc_lo, exec_lo, s4
	s_cbranch_vccnz .LBB0_14
; %bb.13:
	v_cvt_f32_u32_e32 v1, s20
	s_sub_i32 s5, 0, s20
	v_rcp_iflag_f32_e32 v1, v1
	v_mul_f32_e32 v1, 0x4f7ffffe, v1
	v_cvt_u32_f32_e32 v1, v1
	v_readfirstlane_b32 s4, v1
	s_mul_i32 s5, s5, s4
	s_mul_hi_u32 s5, s4, s5
	s_add_i32 s4, s4, s5
	s_mul_hi_u32 s4, s6, s4
	s_mul_i32 s5, s4, s20
	s_sub_i32 s5, s6, s5
	s_add_i32 s6, s4, 1
	s_sub_i32 s7, s5, s20
	s_cmp_ge_u32 s5, s20
	s_cselect_b32 s4, s6, s4
	s_cselect_b32 s5, s7, s5
	s_add_i32 s6, s4, 1
	s_cmp_ge_u32 s5, s20
	s_cselect_b32 s22, s6, s4
.LBB0_14:
	s_lshl_b64 s[4:5], s[10:11], 3
	v_mul_hi_u32 v19, 0x1745d175, v0
	s_add_u32 s4, s14, s4
	s_addc_u32 s5, s15, s5
	v_mov_b32_e32 v1, 0
	s_load_dwordx2 s[4:5], s[4:5], 0x0
	v_mul_u32_u24_e32 v2, 11, v19
	v_lshlrev_b32_e32 v23, 2, v19
	v_add_nc_u32_e32 v20, 11, v19
	v_add_nc_u32_e32 v21, 22, v19
	;; [unrolled: 1-line block ×3, first 2 shown]
	v_sub_nc_u32_e32 v22, v0, v2
	v_add_nc_u32_e32 v18, 44, v19
	v_add_nc_u32_e32 v16, 55, v19
	;; [unrolled: 1-line block ×4, first 2 shown]
	v_add_co_u32 v2, s6, s34, v22
	v_add_co_ci_u32_e64 v3, null, s33, 0, s6
	v_mul_lo_u32 v24, 0x1e4, v22
	v_add_nc_u32_e32 v13, 0x58, v19
	s_waitcnt lgkmcnt(0)
	s_mul_i32 s5, s5, s22
	s_mul_hi_u32 s6, s4, s22
	s_mul_i32 s4, s4, s22
	s_add_i32 s6, s6, s5
	s_add_u32 s4, s4, s35
	s_addc_u32 s5, s6, s36
	s_add_u32 s6, s34, 11
	s_addc_u32 s7, s33, 0
	v_cmp_gt_u64_e32 vcc_lo, s[18:19], v[2:3]
	v_cmp_le_u64_e64 s6, s[6:7], s[18:19]
	v_add_nc_u32_e32 v12, 0x63, v19
	v_add_nc_u32_e32 v11, 0x6e, v19
	s_or_b32 s6, s6, vcc_lo
	s_and_saveexec_b32 s7, s6
	s_cbranch_execz .LBB0_16
; %bb.15:
	v_mad_u64_u32 v[2:3], null, s2, v22, 0
	v_mad_u64_u32 v[4:5], null, s0, v19, 0
	;; [unrolled: 1-line block ×3, first 2 shown]
	s_lshl_b64 s[10:11], s[4:5], 2
	v_mad_u64_u32 v[38:39], null, s0, v12, 0
	v_mov_b32_e32 v0, v3
	v_mov_b32_e32 v3, v5
	s_add_u32 s10, s8, s10
	s_addc_u32 s11, s9, s11
	v_mad_u64_u32 v[8:9], null, s3, v22, v[0:1]
	v_mad_u64_u32 v[25:26], null, s1, v19, v[3:4]
	;; [unrolled: 1-line block ×3, first 2 shown]
	v_mov_b32_e32 v0, v7
	v_mad_u64_u32 v[26:27], null, s0, v17, 0
	v_mov_b32_e32 v3, v8
	v_mov_b32_e32 v5, v25
	v_mad_u64_u32 v[28:29], null, s1, v20, v[0:1]
	v_mov_b32_e32 v7, v10
	v_lshlrev_b64 v[2:3], 2, v[2:3]
	v_lshlrev_b64 v[4:5], 2, v[4:5]
	v_mov_b32_e32 v0, v27
	v_mad_u64_u32 v[29:30], null, s1, v21, v[7:8]
	v_add_co_u32 v43, vcc_lo, s10, v2
	v_add_co_ci_u32_e32 v44, vcc_lo, s11, v3, vcc_lo
	v_mov_b32_e32 v7, v28
	v_add_co_u32 v2, vcc_lo, v43, v4
	v_add_co_ci_u32_e32 v3, vcc_lo, v44, v5, vcc_lo
	v_lshlrev_b64 v[4:5], 2, v[6:7]
	v_mad_u64_u32 v[6:7], null, s0, v18, 0
	v_mad_u64_u32 v[27:28], null, s1, v17, v[0:1]
	v_mov_b32_e32 v10, v29
	v_mad_u64_u32 v[28:29], null, s0, v16, 0
	v_add_co_u32 v4, vcc_lo, v43, v4
	v_mov_b32_e32 v0, v7
	v_lshlrev_b64 v[8:9], 2, v[9:10]
	v_lshlrev_b64 v[25:26], 2, v[26:27]
	v_add_co_ci_u32_e32 v5, vcc_lo, v44, v5, vcc_lo
	v_mad_u64_u32 v[30:31], null, s1, v18, v[0:1]
	v_mad_u64_u32 v[31:32], null, s0, v15, 0
	v_mov_b32_e32 v0, v29
	v_add_co_u32 v8, vcc_lo, v43, v8
	v_add_co_ci_u32_e32 v9, vcc_lo, v44, v9, vcc_lo
	v_mad_u64_u32 v[33:34], null, s1, v16, v[0:1]
	v_mov_b32_e32 v0, v32
	v_mov_b32_e32 v7, v30
	v_add_co_u32 v25, vcc_lo, v43, v25
	v_add_co_ci_u32_e32 v26, vcc_lo, v44, v26, vcc_lo
	v_mad_u64_u32 v[35:36], null, s1, v15, v[0:1]
	v_mad_u64_u32 v[36:37], null, s0, v13, 0
	v_mov_b32_e32 v29, v33
	v_mad_u64_u32 v[33:34], null, s0, v14, 0
	v_lshlrev_b64 v[6:7], 2, v[6:7]
	v_mov_b32_e32 v32, v35
	v_lshlrev_b64 v[27:28], 2, v[28:29]
	v_mov_b32_e32 v10, v37
	v_mov_b32_e32 v0, v34
	v_add_co_u32 v6, vcc_lo, v43, v6
	v_mad_u64_u32 v[40:41], null, s1, v13, v[10:11]
	v_mad_u64_u32 v[29:30], null, s1, v14, v[0:1]
	;; [unrolled: 1-line block ×3, first 2 shown]
	v_mov_b32_e32 v0, v39
	v_lshlrev_b64 v[30:31], 2, v[31:32]
	v_add_co_ci_u32_e32 v7, vcc_lo, v44, v7, vcc_lo
	v_add_co_u32 v27, vcc_lo, v43, v27
	v_mov_b32_e32 v34, v29
	v_mov_b32_e32 v37, v40
	v_mad_u64_u32 v[39:40], null, s1, v12, v[0:1]
	v_mov_b32_e32 v0, v42
	v_add_co_ci_u32_e32 v28, vcc_lo, v44, v28, vcc_lo
	v_add_co_u32 v29, vcc_lo, v43, v30
	v_add_co_ci_u32_e32 v30, vcc_lo, v44, v31, vcc_lo
	v_lshlrev_b64 v[31:32], 2, v[33:34]
	v_mad_u64_u32 v[33:34], null, s1, v11, v[0:1]
	v_lshlrev_b64 v[34:35], 2, v[36:37]
	v_lshlrev_b64 v[36:37], 2, v[38:39]
	v_add_co_u32 v31, vcc_lo, v43, v31
	v_add_co_ci_u32_e32 v32, vcc_lo, v44, v32, vcc_lo
	v_mov_b32_e32 v42, v33
	v_add_co_u32 v33, vcc_lo, v43, v34
	v_add_co_ci_u32_e32 v34, vcc_lo, v44, v35, vcc_lo
	v_lshlrev_b64 v[38:39], 2, v[41:42]
	v_add_co_u32 v35, vcc_lo, v43, v36
	v_add_co_ci_u32_e32 v36, vcc_lo, v44, v37, vcc_lo
	v_add_co_u32 v37, vcc_lo, v43, v38
	v_add_co_ci_u32_e32 v38, vcc_lo, v44, v39, vcc_lo
	s_clause 0xa
	global_load_dword v0, v[2:3], off
	global_load_dword v2, v[4:5], off
	;; [unrolled: 1-line block ×11, first 2 shown]
	v_add3_u32 v26, 0, v24, v23
	s_waitcnt vmcnt(9)
	ds_write2_b32 v26, v0, v2 offset1:11
	s_waitcnt vmcnt(7)
	ds_write2_b32 v26, v3, v4 offset0:22 offset1:33
	s_waitcnt vmcnt(5)
	ds_write2_b32 v26, v5, v6 offset0:44 offset1:55
	;; [unrolled: 2-line block ×4, first 2 shown]
	s_waitcnt vmcnt(0)
	ds_write_b32 v26, v25 offset:440
.LBB0_16:
	s_or_b32 exec_lo, exec_lo, s7
	s_add_u32 s7, 0, 0x5d161400
	s_addc_u32 s10, 0, 0x54
	s_mul_hi_u32 s12, s7, -11
	s_add_i32 s10, s10, 0x1745d120
	s_sub_i32 s12, s12, s7
	s_mul_i32 s13, s10, -11
	s_mul_i32 s11, s7, -11
	s_add_i32 s12, s12, s13
	s_mul_hi_u32 s14, s10, s11
	s_mul_i32 s13, s10, s11
	s_mul_i32 s15, s7, s12
	s_mul_hi_u32 s11, s7, s11
	s_mul_hi_u32 s18, s7, s12
	s_add_u32 s11, s11, s15
	s_addc_u32 s15, 0, s18
	s_mul_hi_u32 s18, s10, s12
	s_add_u32 s11, s11, s13
	s_addc_u32 s11, s15, s14
	s_mul_i32 s12, s10, s12
	s_addc_u32 s13, s18, 0
	s_add_u32 s11, s11, s12
	s_waitcnt lgkmcnt(0)
	v_add_co_u32 v0, s7, s7, s11
	s_addc_u32 s11, 0, s13
	s_cmp_lg_u32 s7, 0
	v_add_co_u32 v26, s7, s34, v19
	s_addc_u32 s10, s10, s11
	v_add_co_ci_u32_e64 v6, null, s33, 0, s7
	v_mad_u64_u32 v[2:3], null, v26, s10, 0
	v_mul_hi_u32 v7, v26, v0
	v_mad_u64_u32 v[4:5], null, v6, v0, 0
	s_barrier
	buffer_gl0_inv
	v_mov_b32_e32 v30, 0x36a6
	v_mov_b32_e32 v31, 0xbbeb
	;; [unrolled: 1-line block ×3, first 2 shown]
	v_add_co_u32 v0, vcc_lo, v7, v2
	v_add_co_ci_u32_e32 v7, vcc_lo, 0, v3, vcc_lo
	v_mad_u64_u32 v[2:3], null, v6, s10, 0
	v_add_co_u32 v0, vcc_lo, v0, v4
	v_add_co_ci_u32_e32 v0, vcc_lo, v7, v5, vcc_lo
	v_mov_b32_e32 v32, 0xb08e
	v_mov_b32_e32 v34, 0xb93d
	v_add_co_ci_u32_e32 v3, vcc_lo, 0, v3, vcc_lo
	v_add_co_u32 v0, vcc_lo, v0, v2
	v_mov_b32_e32 v35, 0x3482
	v_add_co_ci_u32_e32 v4, vcc_lo, 0, v3, vcc_lo
	v_mad_u64_u32 v[2:3], null, v0, 11, 0
	v_mov_b32_e32 v33, 0xba0c
	v_mov_b32_e32 v36, 0xbbad
	;; [unrolled: 1-line block ×3, first 2 shown]
	s_add_i32 s7, 0, 0x14cc
	v_mov_b32_e32 v0, v3
	v_mad_u64_u32 v[3:4], null, v4, 11, v[0:1]
	v_sub_co_u32 v0, vcc_lo, v26, v2
	v_sub_co_ci_u32_e32 v2, vcc_lo, v6, v3, vcc_lo
	v_sub_co_u32 v3, vcc_lo, v0, 11
	v_subrev_co_ci_u32_e32 v4, vcc_lo, 0, v2, vcc_lo
	v_cmp_lt_u32_e32 vcc_lo, 10, v3
	v_cndmask_b32_e64 v5, 0, -1, vcc_lo
	v_cmp_lt_u32_e32 vcc_lo, 10, v0
	v_cndmask_b32_e64 v6, 0, -1, vcc_lo
	v_cmp_eq_u32_e32 vcc_lo, 0, v4
	v_cndmask_b32_e32 v4, -1, v5, vcc_lo
	v_cmp_eq_u32_e32 vcc_lo, 0, v2
	v_add_nc_u32_e32 v5, -11, v3
	v_cndmask_b32_e32 v2, -1, v6, vcc_lo
	v_cmp_ne_u32_e32 vcc_lo, 0, v4
	v_cndmask_b32_e32 v3, v3, v5, vcc_lo
	v_cmp_ne_u32_e32 vcc_lo, 0, v2
	v_lshlrev_b32_e32 v2, 2, v22
	v_cndmask_b32_e32 v0, v0, v3, vcc_lo
	v_mul_u32_u24_e32 v0, 0x79, v0
	v_lshlrev_b32_e32 v0, 2, v0
	v_add3_u32 v25, 0, v0, v2
	v_add3_u32 v8, 0, v2, v0
	ds_read_b32 v0, v25
	ds_read2_b32 v[2:3], v8 offset0:11 offset1:22
	ds_read2_b32 v[4:5], v8 offset0:99 offset1:110
	;; [unrolled: 1-line block ×5, first 2 shown]
	s_waitcnt lgkmcnt(0)
	s_barrier
	buffer_gl0_inv
	v_pk_add_f16 v38, v0, v2
	v_pk_add_f16 v39, v2, v5 neg_lo:[0,1] neg_hi:[0,1]
	v_pk_add_f16 v40, v5, v2
	v_pk_add_f16 v41, v4, v3
	v_pk_add_f16 v42, v3, v4 neg_lo:[0,1] neg_hi:[0,1]
	v_pk_add_f16 v2, v38, v3
	v_mul_f16_sdwa v31, v39, v31 dst_sel:DWORD dst_unused:UNUSED_PAD src0_sel:WORD_1 src1_sel:DWORD
	v_mul_f16_sdwa v38, v40, v30 dst_sel:DWORD dst_unused:UNUSED_PAD src0_sel:WORD_1 src1_sel:DWORD
	v_pk_mul_f16 v3, 0xb853, v39 op_sel_hi:[0,1]
	v_mul_f16_sdwa v29, v39, v29 dst_sel:DWORD dst_unused:UNUSED_PAD src0_sel:WORD_1 src1_sel:DWORD
	v_pk_add_f16 v2, v2, v6
	v_mul_f16_sdwa v45, v40, v32 dst_sel:DWORD dst_unused:UNUSED_PAD src0_sel:WORD_1 src1_sel:DWORD
	v_mul_f16_sdwa v50, v41, v34 dst_sel:DWORD dst_unused:UNUSED_PAD src0_sel:WORD_1 src1_sel:DWORD
	;; [unrolled: 1-line block ×3, first 2 shown]
	v_fmamk_f16 v57, v39, 0x3b47, v38
	v_pk_add_f16 v2, v2, v7
	v_fmac_f16_e32 v38, 0xbb47, v39
	v_fmamk_f16 v58, v40, 0xb08e, v31
	v_pk_add_f16 v43, v6, v10 neg_lo:[0,1] neg_hi:[0,1]
	v_pk_add_f16 v44, v10, v6
	v_pk_add_f16 v2, v2, v27
	v_mul_f16_sdwa v46, v39, v33 dst_sel:DWORD dst_unused:UNUSED_PAD src0_sel:WORD_1 src1_sel:DWORD
	v_mul_f16_sdwa v49, v42, v33 dst_sel:DWORD dst_unused:UNUSED_PAD src0_sel:WORD_1 src1_sel:DWORD
	;; [unrolled: 1-line block ×3, first 2 shown]
	v_pk_fma_f16 v6, 0x3abb, v40, v3 op_sel:[0,0,1] op_sel_hi:[0,1,0]
	v_pk_add_f16 v2, v2, v28
	v_pk_fma_f16 v56, 0x3abb, v40, v3 op_sel:[0,0,1] op_sel_hi:[0,1,0] neg_lo:[0,0,1] neg_hi:[0,0,1]
	v_fmamk_f16 v3, v40, 0x36a6, v29
	v_fma_f16 v29, v40, 0x36a6, -v29
	v_fmamk_f16 v59, v39, 0x3beb, v45
	v_fmamk_f16 v61, v42, 0x3a0c, v50
	v_fmac_f16_e32 v45, 0xbbeb, v39
	v_fmac_f16_e32 v50, 0xba0c, v42
	v_fmamk_f16 v64, v41, 0xbbad, v51
	v_add_f16_sdwa v38, v0, v38 dst_sel:DWORD dst_unused:UNUSED_PAD src0_sel:WORD_1 src1_sel:DWORD
	v_add_f16_e32 v58, v0, v58
	v_pk_add_f16 v2, v2, v9
	v_mul_f16_sdwa v47, v40, v34 dst_sel:DWORD dst_unused:UNUSED_PAD src0_sel:WORD_1 src1_sel:DWORD
	v_pk_mul_f16 v48, 0xbb47, v42 op_sel_hi:[0,1]
	v_mul_f16_sdwa v53, v42, v37 dst_sel:DWORD dst_unused:UNUSED_PAD src0_sel:WORD_1 src1_sel:DWORD
	v_fmamk_f16 v60, v41, 0xb93d, v49
	v_fma_f16 v31, v40, 0xb08e, -v31
	v_fmamk_f16 v62, v40, 0xb93d, v46
	v_fma_f16 v49, v41, 0xb93d, -v49
	v_add_f16_e32 v3, v0, v3
	v_add_f16_e32 v29, v0, v29
	;; [unrolled: 1-line block ×4, first 2 shown]
	v_fmamk_f16 v58, v42, 0xb482, v52
	v_add_f16_sdwa v59, v0, v59 dst_sel:DWORD dst_unused:UNUSED_PAD src0_sel:WORD_1 src1_sel:DWORD
	v_fmac_f16_e32 v52, 0x3482, v42
	v_add_f16_sdwa v45, v0, v45 dst_sel:DWORD dst_unused:UNUSED_PAD src0_sel:WORD_1 src1_sel:DWORD
	v_pk_add_f16 v2, v2, v10
	v_mul_f16_sdwa v54, v41, v32 dst_sel:DWORD dst_unused:UNUSED_PAD src0_sel:WORD_1 src1_sel:DWORD
	v_pk_mul_f16 v55, 0xbbeb, v43 op_sel_hi:[0,1]
	v_fmamk_f16 v63, v39, 0x3a0c, v47
	v_fma_f16 v46, v40, 0xb93d, -v46
	v_fmac_f16_e32 v47, 0xba0c, v39
	v_add_f16_e32 v3, v60, v3
	v_add_f16_e32 v29, v49, v29
	v_pk_fma_f16 v49, 0x36a6, v41, v48 op_sel:[0,0,1] op_sel_hi:[0,1,0]
	v_pk_fma_f16 v48, 0x36a6, v41, v48 op_sel:[0,0,1] op_sel_hi:[0,1,0] neg_lo:[0,0,1] neg_hi:[0,0,1]
	v_fma_f16 v51, v41, 0xbbad, -v51
	v_add_f16_e32 v31, v0, v31
	v_add_f16_e32 v58, v58, v59
	v_fmamk_f16 v59, v41, 0xb08e, v53
	v_add_f16_e32 v60, v0, v62
	v_add_f16_e32 v45, v52, v45
	v_bfi_b32 v52, 0xffff, v6, v56
	v_pk_add_f16 v2, v2, v4
	v_add_f16_e32 v31, v51, v31
	v_fmamk_f16 v51, v42, 0xbbeb, v54
	v_fma_f16 v53, v41, 0xb08e, -v53
	v_add_f16_e32 v59, v59, v60
	v_pk_fma_f16 v10, 0xb08e, v44, v55 op_sel:[0,0,1] op_sel_hi:[0,1,0]
	v_bfi_b32 v60, 0xffff, v49, v48
	v_pk_add_f16 v52, v0, v52
	v_pk_fma_f16 v4, 0xb08e, v44, v55 op_sel:[0,0,1] op_sel_hi:[0,1,0] neg_lo:[0,0,1] neg_hi:[0,0,1]
	v_add_f16_e32 v46, v0, v46
	v_add_f16_sdwa v47, v0, v47 dst_sel:DWORD dst_unused:UNUSED_PAD src0_sel:WORD_1 src1_sel:DWORD
	v_pk_add_f16 v5, v2, v5
	v_fmac_f16_e32 v54, 0x3beb, v42
	v_mul_f16_sdwa v2, v43, v35 dst_sel:DWORD dst_unused:UNUSED_PAD src0_sel:WORD_1 src1_sel:DWORD
	v_add_f16_sdwa v57, v0, v57 dst_sel:DWORD dst_unused:UNUSED_PAD src0_sel:WORD_1 src1_sel:DWORD
	v_pk_add_f16 v52, v60, v52
	v_add_f16_e32 v35, v53, v46
	v_bfi_b32 v46, 0xffff, v10, v4
	v_mul_f16_sdwa v53, v44, v36 dst_sel:DWORD dst_unused:UNUSED_PAD src0_sel:WORD_1 src1_sel:DWORD
	v_add_f16_e32 v47, v54, v47
	v_fmamk_f16 v54, v44, 0xbbad, v2
	v_mov_b32_e32 v55, 0x3b47
	v_add_f16_e32 v57, v61, v57
	v_pk_add_f16 v46, v46, v52
	v_fmamk_f16 v52, v43, 0xb482, v53
	v_fma_f16 v2, v44, 0xbbad, -v2
	v_add_f16_e32 v3, v54, v3
	v_mul_f16_sdwa v54, v43, v55 dst_sel:DWORD dst_unused:UNUSED_PAD src0_sel:WORD_1 src1_sel:DWORD
	v_add_f16_sdwa v61, v0, v63 dst_sel:DWORD dst_unused:UNUSED_PAD src0_sel:WORD_1 src1_sel:DWORD
	v_mul_f16_sdwa v60, v44, v30 dst_sel:DWORD dst_unused:UNUSED_PAD src0_sel:WORD_1 src1_sel:DWORD
	v_add_f16_e32 v52, v52, v57
	v_add_f16_e32 v2, v2, v29
	v_fmamk_f16 v29, v44, 0x36a6, v54
	v_pk_add_f16 v57, v7, v9 neg_lo:[0,1] neg_hi:[0,1]
	v_pk_add_f16 v7, v9, v7
	v_mov_b32_e32 v9, 0xb853
	v_add_f16_e32 v51, v51, v61
	v_fmac_f16_e32 v53, 0x3482, v43
	v_mov_b32_e32 v61, 0x3abb
	v_fmamk_f16 v62, v43, 0xbb47, v60
	v_add_f16_e32 v29, v29, v50
	v_mul_f16_sdwa v50, v43, v9 dst_sel:DWORD dst_unused:UNUSED_PAD src0_sel:WORD_1 src1_sel:DWORD
	v_add_f16_e32 v38, v53, v38
	v_mul_f16_sdwa v53, v44, v61 dst_sel:DWORD dst_unused:UNUSED_PAD src0_sel:WORD_1 src1_sel:DWORD
	v_add_f16_e32 v58, v62, v58
	v_mul_f16_sdwa v37, v57, v37 dst_sel:DWORD dst_unused:UNUSED_PAD src0_sel:WORD_1 src1_sel:DWORD
	v_fmamk_f16 v62, v44, 0x3abb, v50
	v_fma_f16 v50, v44, 0x3abb, -v50
	v_fmamk_f16 v63, v43, 0x3853, v53
	v_fmac_f16_e32 v53, 0xb853, v43
	v_mul_f16_sdwa v32, v7, v32 dst_sel:DWORD dst_unused:UNUSED_PAD src0_sel:WORD_1 src1_sel:DWORD
	v_fma_f16 v54, v44, 0x36a6, -v54
	v_add_f16_e32 v35, v50, v35
	v_fmamk_f16 v50, v7, 0xb08e, v37
	v_fmac_f16_e32 v60, 0x3b47, v43
	v_pk_mul_f16 v64, 0xba0c, v57 op_sel_hi:[0,1]
	v_add_f16_e32 v47, v53, v47
	v_fmamk_f16 v53, v57, 0xbbeb, v32
	v_fma_f16 v37, v7, 0xb08e, -v37
	v_add_f16_e32 v50, v50, v3
	v_mul_f16_sdwa v3, v57, v9 dst_sel:DWORD dst_unused:UNUSED_PAD src0_sel:WORD_1 src1_sel:DWORD
	v_add_f16_e32 v31, v54, v31
	v_add_f16_e32 v45, v60, v45
	;; [unrolled: 1-line block ×3, first 2 shown]
	v_pk_fma_f16 v59, 0xb93d, v7, v64 op_sel:[0,0,1] op_sel_hi:[0,1,0]
	v_pk_fma_f16 v60, 0xb93d, v7, v64 op_sel:[0,0,1] op_sel_hi:[0,1,0] neg_lo:[0,0,1] neg_hi:[0,0,1]
	v_add_f16_e32 v9, v53, v52
	v_add_f16_e32 v37, v37, v2
	v_fmamk_f16 v2, v7, 0x3abb, v3
	v_mul_f16_sdwa v52, v7, v61 dst_sel:DWORD dst_unused:UNUSED_PAD src0_sel:WORD_1 src1_sel:DWORD
	v_bfi_b32 v62, 0xffff, v59, v60
	v_mov_b32_e32 v53, 0xb482
	v_add_f16_e32 v51, v63, v51
	v_fma_f16 v63, v7, 0x3abb, -v3
	v_add_f16_e32 v29, v2, v29
	v_mad_u64_u32 v[2:3], null, v22, 40, v[8:9]
	v_pk_add_f16 v46, v62, v46
	v_fmac_f16_e32 v32, 0x3beb, v57
	v_fmamk_f16 v62, v57, 0x3853, v52
	v_mul_f16_sdwa v3, v57, v53 dst_sel:DWORD dst_unused:UNUSED_PAD src0_sel:WORD_1 src1_sel:DWORD
	v_fmac_f16_e32 v52, 0xb853, v57
	v_mul_f16_sdwa v36, v7, v36 dst_sel:DWORD dst_unused:UNUSED_PAD src0_sel:WORD_1 src1_sel:DWORD
	v_add_f16_e32 v32, v32, v38
	v_add_f16_e32 v38, v62, v58
	v_pk_add_f16 v53, v27, v28 neg_lo:[0,1] neg_hi:[0,1]
	v_fmamk_f16 v58, v7, 0xbbad, v3
	v_pk_add_f16 v27, v28, v27
	v_add_f16_e32 v28, v52, v45
	v_fmamk_f16 v45, v57, 0x3482, v36
	v_pk_mul_f16 v52, 0xb482, v53 op_sel_hi:[0,1]
	v_add_f16_e32 v54, v58, v54
	v_mov_b32_e32 v58, 0x3853
	v_fma_f16 v3, v7, 0xbbad, -v3
	v_add_f16_e32 v45, v45, v51
	v_pk_fma_f16 v51, 0xbbad, v27, v52 op_sel:[0,0,1] op_sel_hi:[0,1,0]
	v_pk_fma_f16 v52, 0xbbad, v27, v52 op_sel:[0,0,1] op_sel_hi:[0,1,0] neg_lo:[0,0,1] neg_hi:[0,0,1]
	v_fmac_f16_e32 v36, 0xb482, v57
	v_mul_f16_sdwa v58, v53, v58 dst_sel:DWORD dst_unused:UNUSED_PAD src0_sel:WORD_1 src1_sel:DWORD
	v_add_f16_e32 v3, v3, v35
	v_mul_f16_sdwa v61, v27, v61 dst_sel:DWORD dst_unused:UNUSED_PAD src0_sel:WORD_1 src1_sel:DWORD
	v_bfi_b32 v35, 0xffff, v51, v52
	v_add_f16_e32 v36, v36, v47
	v_fmamk_f16 v47, v27, 0x3abb, v58
	v_mul_f16_sdwa v34, v27, v34 dst_sel:DWORD dst_unused:UNUSED_PAD src0_sel:WORD_1 src1_sel:DWORD
	v_mul_f16_sdwa v33, v53, v33 dst_sel:DWORD dst_unused:UNUSED_PAD src0_sel:WORD_1 src1_sel:DWORD
	v_pk_add_f16 v35, v35, v46
	v_mul_f16_sdwa v30, v27, v30 dst_sel:DWORD dst_unused:UNUSED_PAD src0_sel:WORD_1 src1_sel:DWORD
	v_add_f16_e32 v46, v47, v50
	v_fmamk_f16 v47, v53, 0xb853, v61
	v_fma_f16 v50, v27, 0x3abb, -v58
	v_fmamk_f16 v58, v27, 0xb93d, v33
	v_pk_mul_f16 v40, 0xbbad, v40 op_sel_hi:[0,1]
	ds_write2_b32 v2, v5, v35 offset1:1
	v_add_f16_e32 v9, v47, v9
	v_fmamk_f16 v47, v53, 0x3a0c, v34
	v_fmac_f16_e32 v34, 0xba0c, v53
	v_add_f16_e32 v29, v58, v29
	v_pk_mul_f16 v5, 0x3abb, v41 op_sel_hi:[0,1]
	v_pk_mul_f16 v7, 0x36a6, v7 op_sel_hi:[0,1]
	v_add_f16_e32 v38, v47, v38
	v_add_f16_e32 v28, v34, v28
	v_fmamk_f16 v34, v53, 0xbb47, v30
	v_fmac_f16_e32 v30, 0x3b47, v53
	v_add_f16_e32 v31, v63, v31
	v_pack_b32_f16 v29, v29, v38
	v_pk_fma_f16 v38, 0x3853, v42, v5 op_sel:[0,0,1] op_sel_hi:[0,1,0]
	v_add_f16_e32 v34, v34, v45
	v_pk_fma_f16 v45, 0xb482, v39, v40 op_sel:[0,0,1] op_sel_hi:[0,1,0]
	v_add_f16_e32 v30, v30, v36
	v_pk_fma_f16 v36, 0xb482, v39, v40 op_sel:[0,0,1] op_sel_hi:[0,1,0] neg_lo:[0,1,0] neg_hi:[0,1,0]
	v_pk_mul_f16 v39, 0xb93d, v44 op_sel_hi:[0,1]
	v_alignbit_b32 v40, s0, v0, 16
	v_alignbit_b32 v35, s0, v45, 16
	;; [unrolled: 1-line block ×3, first 2 shown]
	v_pk_add_f16 v36, v0, v36 op_sel:[1,0] op_sel_hi:[0,1]
	v_pk_fma_f16 v5, 0x3853, v42, v5 op_sel:[0,0,1] op_sel_hi:[0,1,0] neg_lo:[0,1,0] neg_hi:[0,1,0]
	v_pk_fma_f16 v42, 0xba0c, v43, v39 op_sel:[0,0,1] op_sel_hi:[0,1,0]
	v_pk_add_f16 v35, v0, v35
	v_add_f16_e32 v37, v50, v37
	v_fma_f16 v33, v27, 0xb93d, -v33
	v_mul_f16_sdwa v50, v53, v55 dst_sel:DWORD dst_unused:UNUSED_PAD src0_sel:WORD_1 src1_sel:DWORD
	v_pack_b32_f16 v9, v46, v9
	v_pk_add_f16 v40, v40, v45
	v_pk_add_f16 v35, v41, v35
	;; [unrolled: 1-line block ×3, first 2 shown]
	v_alignbit_b32 v36, s0, v42, 16
	v_pk_fma_f16 v41, 0x3b47, v57, v7 op_sel:[0,0,1] op_sel_hi:[0,1,0]
	v_bfi_b32 v6, 0xffff, v56, v6
	v_add_f16_e32 v31, v33, v31
	v_fmamk_f16 v33, v27, 0x36a6, v50
	v_fma_f16 v47, v27, 0x36a6, -v50
	v_pk_fma_f16 v39, 0xba0c, v43, v39 op_sel:[0,0,1] op_sel_hi:[0,1,0] neg_lo:[0,1,0] neg_hi:[0,1,0]
	ds_write2_b32 v2, v9, v29 offset0:2 offset1:3
	v_pk_add_f16 v9, v38, v40
	v_pk_add_f16 v29, v36, v35
	v_alignbit_b32 v35, s0, v41, 16
	v_pk_mul_f16 v27, 0xb08e, v27 op_sel_hi:[0,1]
	v_pk_add_f16 v0, v0, v6
	v_bfi_b32 v6, 0xffff, v48, v49
	v_pk_add_f16 v5, v39, v5
	v_pk_add_f16 v9, v42, v9
	v_pk_fma_f16 v7, 0x3b47, v57, v7 op_sel:[0,0,1] op_sel_hi:[0,1,0] neg_lo:[0,1,0] neg_hi:[0,1,0]
	v_pk_add_f16 v29, v35, v29
	v_pk_fma_f16 v35, 0xbbeb, v53, v27 op_sel:[0,0,1] op_sel_hi:[0,1,0]
	v_pk_add_f16 v0, v6, v0
	v_bfi_b32 v4, 0xffff, v4, v10
	v_pk_add_f16 v5, v7, v5
	v_pk_add_f16 v7, v41, v9
	v_pk_fma_f16 v9, 0xbbeb, v53, v27 op_sel:[0,0,1] op_sel_hi:[0,1,0] neg_lo:[0,1,0] neg_hi:[0,1,0]
	v_alignbit_b32 v27, s0, v35, 16
	v_pk_add_f16 v4, v4, v0
	v_mul_lo_u32 v0, v22, 10
	v_add_f16_e32 v33, v33, v54
	v_pk_add_f16 v5, v9, v5
	v_pk_add_f16 v7, v35, v7
	;; [unrolled: 1-line block ×3, first 2 shown]
	v_add_f16_e32 v3, v47, v3
	v_fmac_f16_e32 v61, 0x3853, v53
	v_bfi_b32 v10, 0xffff, v60, v59
	v_lshlrev_b64 v[0:1], 2, v[0:1]
	v_pack_b32_f16 v6, v33, v34
	v_alignbit_b32 v7, v7, v5, 16
	v_pack_b32_f16 v5, v9, v5
	v_pack_b32_f16 v9, v31, v28
	;; [unrolled: 1-line block ×3, first 2 shown]
	v_add_f16_e32 v32, v61, v32
	v_pk_add_f16 v4, v10, v4
	v_bfi_b32 v10, 0xffff, v52, v51
	ds_write_b32 v2, v6 offset:16
	ds_write2_b32 v2, v5, v7 offset0:5 offset1:6
	ds_write2_b32 v2, v3, v9 offset0:7 offset1:8
	v_add_co_u32 v9, vcc_lo, s16, v0
	v_pk_add_f16 v3, v10, v4
	v_pack_b32_f16 v4, v37, v32
	v_add_co_ci_u32_e32 v10, vcc_lo, s17, v1, vcc_lo
	v_mul_lo_u32 v27, v22, v26
	v_mul_lo_u32 v29, v26, 11
	ds_write2_b32 v2, v4, v3 offset0:9 offset1:10
	s_waitcnt lgkmcnt(0)
	s_barrier
	buffer_gl0_inv
	s_clause 0x2
	global_load_dwordx4 v[0:3], v[9:10], off
	global_load_dwordx4 v[4:7], v[9:10], off offset:16
	global_load_dwordx2 v[9:10], v[9:10], off offset:32
	ds_read2_b32 v[33:34], v8 offset0:55 offset1:66
	ds_read2_b32 v[35:36], v8 offset0:77 offset1:88
	;; [unrolled: 1-line block ×5, first 2 shown]
	v_add_nc_u32_e32 v43, v27, v29
	v_add_nc_u32_e32 v44, v43, v29
	;; [unrolled: 1-line block ×4, first 2 shown]
	s_waitcnt lgkmcnt(2)
	v_lshrrev_b32_e32 v54, 16, v38
	s_waitcnt lgkmcnt(1)
	v_lshrrev_b32_e32 v53, 16, v39
	v_lshrrev_b32_e32 v51, 16, v36
	v_add_nc_u32_e32 v32, v46, v29
	v_lshrrev_b32_e32 v52, 16, v37
	v_lshrrev_b32_e32 v55, 16, v40
	;; [unrolled: 1-line block ×3, first 2 shown]
	s_waitcnt lgkmcnt(0)
	v_lshrrev_b32_e32 v56, 16, v41
	v_add_nc_u32_e32 v31, v32, v29
	v_lshrrev_b32_e32 v57, 16, v42
	v_add_nc_u32_e32 v30, v31, v29
	v_add_nc_u32_e32 v26, v30, v29
	;; [unrolled: 1-line block ×4, first 2 shown]
	v_lshrrev_b32_e32 v47, 8, v29
	v_and_b32_e32 v47, 0x7c, v47
	v_add_nc_u32_e32 v47, s7, v47
	ds_read_u16 v48, v8 offset:222
	ds_read_b32 v49, v25
	ds_read_b32 v25, v47 offset:256
	v_lshrrev_b32_e32 v47, 16, v34
	s_waitcnt vmcnt(2)
	v_mul_f16_sdwa v58, v0, v53 dst_sel:DWORD dst_unused:UNUSED_PAD src0_sel:WORD_1 src1_sel:DWORD
	v_mul_f16_sdwa v59, v0, v39 dst_sel:DWORD dst_unused:UNUSED_PAD src0_sel:WORD_1 src1_sel:DWORD
	s_waitcnt vmcnt(0)
	v_mul_f16_sdwa v76, v54, v10 dst_sel:DWORD dst_unused:UNUSED_PAD src0_sel:DWORD src1_sel:WORD_1
	v_mul_f16_sdwa v77, v38, v10 dst_sel:DWORD dst_unused:UNUSED_PAD src0_sel:DWORD src1_sel:WORD_1
	v_mul_f16_sdwa v60, v1, v55 dst_sel:DWORD dst_unused:UNUSED_PAD src0_sel:WORD_1 src1_sel:DWORD
	v_mul_f16_sdwa v61, v1, v40 dst_sel:DWORD dst_unused:UNUSED_PAD src0_sel:WORD_1 src1_sel:DWORD
	v_mul_f16_sdwa v68, v47, v5 dst_sel:DWORD dst_unused:UNUSED_PAD src0_sel:DWORD src1_sel:WORD_1
	v_mul_f16_sdwa v72, v51, v7 dst_sel:DWORD dst_unused:UNUSED_PAD src0_sel:DWORD src1_sel:WORD_1
	;; [unrolled: 1-line block ×4, first 2 shown]
	v_fmac_f16_e32 v58, v0, v39
	v_fma_f16 v0, v0, v53, -v59
	v_fmac_f16_e32 v76, v38, v10
	v_fma_f16 v10, v54, v10, -v77
	v_mul_f16_sdwa v62, v2, v56 dst_sel:DWORD dst_unused:UNUSED_PAD src0_sel:WORD_1 src1_sel:DWORD
	v_mul_f16_sdwa v63, v2, v41 dst_sel:DWORD dst_unused:UNUSED_PAD src0_sel:WORD_1 src1_sel:DWORD
	s_waitcnt lgkmcnt(2)
	v_mul_f16_sdwa v66, v48, v4 dst_sel:DWORD dst_unused:UNUSED_PAD src0_sel:DWORD src1_sel:WORD_1
	v_mul_f16_sdwa v69, v34, v5 dst_sel:DWORD dst_unused:UNUSED_PAD src0_sel:DWORD src1_sel:WORD_1
	;; [unrolled: 1-line block ×4, first 2 shown]
	v_fmac_f16_e32 v60, v1, v40
	v_fma_f16 v1, v1, v55, -v61
	v_fmac_f16_e32 v68, v34, v5
	v_fmac_f16_e32 v72, v36, v7
	;; [unrolled: 1-line block ×3, first 2 shown]
	v_fma_f16 v9, v52, v9, -v75
	s_waitcnt lgkmcnt(1)
	v_add_f16_sdwa v34, v0, v49 dst_sel:DWORD dst_unused:UNUSED_PAD src0_sel:DWORD src1_sel:WORD_1
	v_add_f16_e32 v36, v0, v10
	v_sub_f16_e32 v0, v0, v10
	v_mul_f16_sdwa v64, v3, v57 dst_sel:DWORD dst_unused:UNUSED_PAD src0_sel:WORD_1 src1_sel:DWORD
	v_mul_f16_sdwa v65, v3, v42 dst_sel:DWORD dst_unused:UNUSED_PAD src0_sel:WORD_1 src1_sel:DWORD
	;; [unrolled: 1-line block ×3, first 2 shown]
	v_mul_f16_sdwa v71, v35, v6 dst_sel:DWORD dst_unused:UNUSED_PAD src0_sel:DWORD src1_sel:WORD_1
	v_fmac_f16_e32 v62, v2, v41
	v_fma_f16 v2, v2, v56, -v63
	v_fmac_f16_e32 v66, v4, v33
	v_fmac_f16_e32 v70, v35, v6
	v_add_f16_e32 v33, v58, v49
	v_add_f16_e32 v35, v58, v76
	v_sub_f16_e32 v39, v1, v9
	v_add_f16_e32 v40, v1, v9
	v_add_f16_e32 v1, v34, v1
	v_mul_f16_e32 v34, 0xb853, v0
	v_fmac_f16_e32 v64, v3, v42
	v_fma_f16 v3, v3, v57, -v65
	v_fma_f16 v4, v48, v4, -v67
	;; [unrolled: 1-line block ×5, first 2 shown]
	v_sub_f16_e32 v37, v58, v76
	v_add_f16_e32 v38, v60, v74
	v_sub_f16_e32 v41, v60, v74
	v_mul_f16_e32 v42, 0x3abb, v36
	v_mul_f16_e32 v47, 0xbb47, v0
	;; [unrolled: 1-line block ×10, first 2 shown]
	v_add_f16_e32 v33, v33, v60
	v_fmamk_f16 v60, v35, 0x3abb, v34
	v_add_f16_e32 v1, v1, v2
	v_mul_f16_e32 v57, 0xb93d, v40
	v_mul_f16_e32 v58, 0x3482, v39
	v_fmamk_f16 v61, v37, 0x3853, v42
	v_fma_f16 v34, v35, 0x3abb, -v34
	v_fmac_f16_e32 v42, 0xb853, v37
	v_fmamk_f16 v63, v35, 0x36a6, v47
	v_fmamk_f16 v65, v37, 0x3b47, v48
	v_fma_f16 v47, v35, 0x36a6, -v47
	v_fmac_f16_e32 v48, 0xbb47, v37
	v_fmamk_f16 v67, v35, 0xb08e, v50
	;; [unrolled: 4-line block ×4, first 2 shown]
	v_fma_f16 v0, v35, 0xbbad, -v0
	v_fmamk_f16 v35, v37, 0x3482, v36
	v_fmac_f16_e32 v36, 0xb482, v37
	v_fmamk_f16 v37, v38, 0x36a6, v54
	v_add_f16_e32 v60, v60, v49
	v_add_f16_e32 v1, v1, v3
	v_fmamk_f16 v79, v41, 0x3a0c, v57
	v_fmac_f16_e32 v57, 0xba0c, v41
	v_add_f16_sdwa v48, v48, v49 dst_sel:DWORD dst_unused:UNUSED_PAD src0_sel:DWORD src1_sel:WORD_1
	v_add_f16_e32 v67, v67, v49
	v_add_f16_e32 v37, v37, v60
	v_fmamk_f16 v60, v38, 0xbbad, v58
	v_add_f16_e32 v1, v1, v4
	v_add_f16_e32 v50, v50, v49
	;; [unrolled: 1-line block ×3, first 2 shown]
	v_fma_f16 v58, v38, 0xbbad, -v58
	v_add_f16_e32 v57, v60, v67
	v_mul_f16_e32 v60, 0x3beb, v39
	v_add_f16_e32 v1, v1, v5
	v_mul_f16_e32 v55, 0x36a6, v40
	v_mul_f16_e32 v56, 0xba0c, v39
	v_add_f16_e32 v52, v52, v49
	v_add_f16_e32 v50, v58, v50
	v_fmamk_f16 v58, v38, 0xb08e, v60
	v_fma_f16 v60, v38, 0xb08e, -v60
	v_add_f16_e32 v1, v1, v6
	v_mul_f16_e32 v39, 0x3853, v39
	v_mul_f16_e32 v59, 0xbbad, v40
	v_fmamk_f16 v77, v41, 0x3b47, v55
	v_fmamk_f16 v78, v38, 0xb93d, v56
	v_fma_f16 v56, v38, 0xb93d, -v56
	v_add_f16_sdwa v61, v61, v49 dst_sel:DWORD dst_unused:UNUSED_PAD src0_sel:DWORD src1_sel:WORD_1
	v_add_f16_e32 v47, v47, v49
	v_add_f16_e32 v75, v75, v49
	;; [unrolled: 1-line block ×4, first 2 shown]
	v_fmamk_f16 v60, v38, 0x3abb, v39
	v_add_f16_e32 v34, v34, v49
	v_add_f16_sdwa v42, v42, v49 dst_sel:DWORD dst_unused:UNUSED_PAD src0_sel:DWORD src1_sel:WORD_1
	v_add_f16_e32 v63, v63, v49
	v_add_f16_sdwa v65, v65, v49 dst_sel:DWORD dst_unused:UNUSED_PAD src0_sel:DWORD src1_sel:WORD_1
	v_add_f16_sdwa v69, v69, v49 dst_sel:DWORD dst_unused:UNUSED_PAD src0_sel:DWORD src1_sel:WORD_1
	;; [unrolled: 1-line block ×3, first 2 shown]
	v_add_f16_e32 v71, v71, v49
	v_add_f16_sdwa v73, v73, v49 dst_sel:DWORD dst_unused:UNUSED_PAD src0_sel:DWORD src1_sel:WORD_1
	v_add_f16_sdwa v53, v53, v49 dst_sel:DWORD dst_unused:UNUSED_PAD src0_sel:DWORD src1_sel:WORD_1
	;; [unrolled: 1-line block ×3, first 2 shown]
	v_add_f16_e32 v0, v0, v49
	v_add_f16_sdwa v36, v36, v49 dst_sel:DWORD dst_unused:UNUSED_PAD src0_sel:DWORD src1_sel:WORD_1
	v_add_f16_e32 v49, v77, v61
	v_add_f16_e32 v47, v56, v47
	v_fmamk_f16 v56, v41, 0xb482, v59
	v_mul_f16_e32 v61, 0xb08e, v40
	v_fmac_f16_e32 v59, 0x3482, v41
	v_add_f16_e32 v1, v1, v9
	v_mul_f16_e32 v9, 0x3abb, v40
	v_add_f16_e32 v40, v60, v75
	v_sub_f16_e32 v60, v2, v7
	v_fma_f16 v54, v38, 0x36a6, -v54
	v_add_f16_e32 v51, v59, v51
	v_fmamk_f16 v59, v41, 0xbbeb, v61
	v_fmac_f16_e32 v61, 0x3beb, v41
	v_add_f16_e32 v1, v1, v10
	v_fmamk_f16 v10, v41, 0xb853, v9
	v_fma_f16 v38, v38, 0x3abb, -v39
	v_add_f16_e32 v2, v2, v7
	v_add_f16_e32 v7, v62, v72
	v_mul_f16_e32 v39, 0xbbeb, v60
	v_fmac_f16_e32 v55, 0xbb47, v41
	v_add_f16_e32 v53, v61, v53
	v_fmac_f16_e32 v9, 0x3853, v41
	v_sub_f16_e32 v41, v62, v72
	v_mul_f16_e32 v61, 0xb08e, v2
	v_add_f16_e32 v10, v10, v35
	v_fmamk_f16 v35, v7, 0xb08e, v39
	v_add_f16_e32 v34, v54, v34
	v_add_f16_e32 v42, v55, v42
	;; [unrolled: 1-line block ×4, first 2 shown]
	v_fmamk_f16 v36, v41, 0x3beb, v61
	v_mul_f16_e32 v38, 0x3482, v60
	v_add_f16_e32 v35, v35, v37
	v_fma_f16 v37, v7, 0xb08e, -v39
	v_fmac_f16_e32 v61, 0xbbeb, v41
	v_add_f16_e32 v54, v78, v63
	v_mul_f16_e32 v39, 0xbbad, v2
	v_add_f16_e32 v36, v36, v49
	v_fmamk_f16 v49, v7, 0xbbad, v38
	v_add_f16_e32 v34, v37, v34
	v_add_f16_e32 v37, v61, v42
	v_mul_f16_e32 v61, 0x3b47, v60
	v_add_f16_e32 v55, v79, v65
	v_add_f16_e32 v33, v33, v62
	v_fmamk_f16 v42, v41, 0xb482, v39
	v_add_f16_e32 v49, v49, v54
	v_fma_f16 v38, v7, 0xbbad, -v38
	v_fmac_f16_e32 v39, 0x3482, v41
	v_mul_f16_e32 v54, 0x36a6, v2
	v_fmamk_f16 v62, v7, 0x36a6, v61
	v_add_f16_e32 v56, v56, v69
	v_add_f16_e32 v42, v42, v55
	;; [unrolled: 1-line block ×4, first 2 shown]
	v_fmamk_f16 v47, v41, 0xbb47, v54
	v_add_f16_e32 v48, v62, v57
	v_mul_f16_e32 v55, 0xb853, v60
	v_fma_f16 v57, v7, 0x36a6, -v61
	v_add_f16_e32 v58, v58, v71
	v_fmac_f16_e32 v54, 0x3b47, v41
	v_mul_f16_e32 v61, 0x3abb, v2
	v_add_f16_e32 v47, v47, v56
	v_fmamk_f16 v56, v7, 0x3abb, v55
	v_add_f16_e32 v50, v57, v50
	v_mul_f16_e32 v57, 0xba0c, v60
	v_fma_f16 v55, v7, 0x3abb, -v55
	v_add_f16_e32 v59, v59, v73
	v_add_f16_e32 v51, v54, v51
	v_fmamk_f16 v54, v41, 0x3853, v61
	v_add_f16_e32 v56, v56, v58
	v_fmamk_f16 v58, v7, 0xb93d, v57
	v_mul_f16_e32 v2, 0xb93d, v2
	v_add_f16_e32 v52, v55, v52
	v_sub_f16_e32 v55, v3, v6
	v_add_f16_e32 v3, v3, v6
	v_fmac_f16_e32 v61, 0xb853, v41
	v_add_f16_e32 v54, v54, v59
	v_add_f16_e32 v40, v58, v40
	v_fmamk_f16 v58, v41, 0x3a0c, v2
	v_add_f16_e32 v59, v64, v70
	v_mul_f16_e32 v6, 0xba0c, v55
	v_fma_f16 v7, v7, 0xb93d, -v57
	v_fmac_f16_e32 v2, 0xba0c, v41
	v_sub_f16_e32 v41, v64, v70
	v_mul_f16_e32 v57, 0xb93d, v3
	v_fmamk_f16 v60, v59, 0xb93d, v6
	v_add_f16_e32 v0, v7, v0
	v_add_f16_e32 v2, v2, v9
	v_fma_f16 v6, v59, 0xb93d, -v6
	v_fmamk_f16 v7, v41, 0x3a0c, v57
	v_add_f16_e32 v9, v60, v35
	v_mul_f16_e32 v35, 0x3beb, v55
	v_fmac_f16_e32 v57, 0xba0c, v41
	v_add_f16_e32 v10, v58, v10
	v_add_f16_e32 v7, v7, v36
	v_mul_f16_e32 v36, 0xb08e, v3
	v_fmamk_f16 v58, v59, 0xb08e, v35
	v_add_f16_e32 v6, v6, v34
	v_add_f16_e32 v34, v57, v37
	v_mul_f16_e32 v37, 0xb853, v55
	v_fmamk_f16 v57, v41, 0xbbeb, v36
	v_add_f16_e32 v49, v58, v49
	v_fma_f16 v35, v59, 0xb08e, -v35
	v_fmac_f16_e32 v36, 0x3beb, v41
	v_fmamk_f16 v58, v59, 0x3abb, v37
	v_add_f16_e32 v42, v57, v42
	v_mul_f16_e32 v57, 0x3abb, v3
	v_add_f16_e32 v35, v35, v38
	v_add_f16_e32 v36, v36, v39
	;; [unrolled: 1-line block ×3, first 2 shown]
	v_mul_f16_e32 v39, 0xb482, v55
	v_fmamk_f16 v48, v41, 0x3853, v57
	v_mul_f16_e32 v58, 0xbbad, v3
	v_mul_f16_e32 v55, 0x3b47, v55
	v_fma_f16 v37, v59, 0x3abb, -v37
	v_fmamk_f16 v60, v59, 0xbbad, v39
	v_add_f16_e32 v47, v48, v47
	v_fmamk_f16 v48, v41, 0x3482, v58
	v_fma_f16 v39, v59, 0xbbad, -v39
	v_fmac_f16_e32 v57, 0xb853, v41
	v_mul_f16_e32 v3, 0x36a6, v3
	v_add_f16_e32 v37, v37, v50
	v_add_f16_e32 v48, v48, v54
	v_fmamk_f16 v54, v59, 0x36a6, v55
	v_add_f16_e32 v39, v39, v52
	v_sub_f16_e32 v52, v4, v5
	v_add_f16_e32 v50, v57, v51
	v_add_f16_e32 v51, v60, v56
	v_fmamk_f16 v56, v41, 0xbb47, v3
	v_add_f16_e32 v40, v54, v40
	v_add_f16_e32 v54, v66, v68
	v_mul_f16_e32 v57, 0xb482, v52
	v_add_f16_e32 v4, v4, v5
	v_fma_f16 v5, v59, 0x36a6, -v55
	v_add_f16_e32 v53, v61, v53
	v_fmac_f16_e32 v58, 0xb482, v41
	v_add_f16_e32 v10, v56, v10
	v_fmac_f16_e32 v3, 0x3b47, v41
	v_fmamk_f16 v41, v54, 0xbbad, v57
	v_sub_f16_e32 v55, v66, v68
	v_mul_f16_e32 v56, 0xbbad, v4
	v_add_f16_e32 v0, v5, v0
	v_mul_f16_e32 v5, 0x3853, v52
	v_add_f16_e32 v53, v58, v53
	v_add_f16_e32 v2, v3, v2
	;; [unrolled: 1-line block ×3, first 2 shown]
	v_fmamk_f16 v9, v55, 0x3482, v56
	v_fma_f16 v41, v54, 0xbbad, -v57
	v_mul_f16_e32 v57, 0x3abb, v4
	v_fmac_f16_e32 v56, 0xb482, v55
	v_fmamk_f16 v58, v54, 0x3abb, v5
	v_add_f16_e32 v7, v9, v7
	v_add_f16_e32 v6, v41, v6
	v_fmamk_f16 v9, v55, 0xb853, v57
	v_add_f16_e32 v34, v56, v34
	v_add_f16_e32 v41, v58, v49
	v_mul_f16_e32 v49, 0xba0c, v52
	v_mul_f16_e32 v56, 0xb93d, v4
	v_add_f16_e32 v9, v9, v42
	v_fma_f16 v5, v54, 0x3abb, -v5
	v_fmac_f16_e32 v57, 0x3853, v55
	v_fmamk_f16 v42, v54, 0xb93d, v49
	v_fmamk_f16 v58, v55, 0x3a0c, v56
	v_fma_f16 v49, v54, 0xb93d, -v49
	v_add_f16_e32 v5, v5, v35
	v_add_f16_e32 v35, v57, v36
	;; [unrolled: 1-line block ×5, first 2 shown]
	v_lshrrev_b32_e32 v47, 3, v27
	v_lshrrev_b32_e32 v49, 8, v27
	v_and_b32_e32 v27, 31, v27
	v_lshrrev_b32_e32 v60, 3, v43
	v_lshrrev_b32_e32 v61, 8, v43
	v_and_b32_e32 v47, 0x7c, v47
	v_lshrrev_b32_e32 v62, 3, v44
	v_lshl_add_u32 v27, v27, 2, 0
	v_and_b32_e32 v49, 0x7c, v49
	v_and_b32_e32 v43, 31, v43
	v_add_nc_u32_e32 v47, s7, v47
	v_and_b32_e32 v60, 0x7c, v60
	ds_read_b32 v27, v27 offset:5324
	v_and_b32_e32 v61, 0x7c, v61
	v_and_b32_e32 v63, 31, v44
	ds_read_b32 v47, v47 offset:128
	v_and_b32_e32 v62, 0x7c, v62
	v_add_f16_e32 v33, v33, v64
	v_mul_f16_e32 v42, 0x3b47, v52
	v_add_nc_u32_e32 v49, s7, v49
	v_lshl_add_u32 v43, v43, 2, 0
	v_add_nc_u32_e32 v60, s7, v60
	v_add_nc_u32_e32 v61, s7, v61
	v_lshl_add_u32 v63, v63, 2, 0
	v_add_nc_u32_e32 v62, s7, v62
	v_add_f16_e32 v33, v33, v66
	v_fmamk_f16 v58, v54, 0x36a6, v42
	v_fma_f16 v42, v54, 0x36a6, -v42
	ds_read_b32 v49, v49 offset:256
	ds_read_b32 v43, v43 offset:5324
	;; [unrolled: 1-line block ×6, first 2 shown]
	v_fmac_f16_e32 v56, 0xba0c, v55
	v_add_f16_e32 v33, v33, v68
	v_mul_f16_e32 v57, 0x36a6, v4
	s_waitcnt lgkmcnt(7)
	v_lshrrev_b32_e32 v64, 16, v27
	v_add_f16_e32 v39, v42, v39
	v_add_f16_e32 v50, v56, v50
	;; [unrolled: 1-line block ×3, first 2 shown]
	v_fmamk_f16 v59, v55, 0xbb47, v57
	s_waitcnt lgkmcnt(6)
	v_mul_f16_sdwa v42, v64, v47 dst_sel:DWORD dst_unused:UNUSED_PAD src0_sel:DWORD src1_sel:WORD_1
	v_fmac_f16_e32 v57, 0x3b47, v55
	v_mul_f16_e32 v52, 0xbbeb, v52
	v_mul_f16_sdwa v56, v27, v47 dst_sel:DWORD dst_unused:UNUSED_PAD src0_sel:DWORD src1_sel:WORD_1
	v_add_f16_e32 v33, v33, v72
	v_fma_f16 v27, v27, v47, -v42
	v_add_f16_e32 v42, v57, v53
	v_fmamk_f16 v53, v54, 0xb08e, v52
	v_fmac_f16_e32 v56, v64, v47
	v_fma_f16 v52, v54, 0xb08e, -v52
	s_waitcnt lgkmcnt(5)
	v_mul_f16_sdwa v47, v27, v49 dst_sel:DWORD dst_unused:UNUSED_PAD src0_sel:DWORD src1_sel:WORD_1
	v_add_f16_e32 v33, v33, v74
	v_add_f16_e32 v40, v53, v40
	v_mul_f16_sdwa v53, v56, v49 dst_sel:DWORD dst_unused:UNUSED_PAD src0_sel:DWORD src1_sel:WORD_1
	v_mul_f16_e32 v4, 0xb08e, v4
	v_fmac_f16_e32 v47, v49, v56
	v_add_f16_e32 v0, v52, v0
	s_waitcnt lgkmcnt(4)
	v_lshrrev_b32_e32 v52, 16, v43
	v_add_f16_e32 v33, v33, v76
	v_fma_f16 v27, v49, v27, -v53
	v_mul_f16_e32 v49, v1, v47
	v_fmamk_f16 v57, v55, 0x3beb, v4
	v_fmac_f16_e32 v4, 0xbbeb, v55
	s_waitcnt lgkmcnt(3)
	v_mul_f16_sdwa v54, v52, v60 dst_sel:DWORD dst_unused:UNUSED_PAD src0_sel:DWORD src1_sel:WORD_1
	v_mul_f16_e32 v47, v33, v47
	v_fmac_f16_e32 v49, v33, v27
	v_lshrrev_b32_e32 v33, 8, v44
	v_mul_f16_sdwa v53, v43, v60 dst_sel:DWORD dst_unused:UNUSED_PAD src0_sel:DWORD src1_sel:WORD_1
	v_add_f16_e32 v2, v4, v2
	v_fma_f16 v4, v43, v60, -v54
	v_fma_f16 v1, v1, v27, -v47
	v_lshrrev_b32_e32 v47, 3, v45
	v_and_b32_e32 v33, 0x7c, v33
	v_fmac_f16_e32 v53, v52, v60
	s_waitcnt lgkmcnt(2)
	v_mul_f16_sdwa v44, v4, v61 dst_sel:DWORD dst_unused:UNUSED_PAD src0_sel:DWORD src1_sel:WORD_1
	v_and_b32_e32 v54, 31, v45
	v_and_b32_e32 v47, 0x7c, v47
	v_add_nc_u32_e32 v33, s7, v33
	v_mul_f16_sdwa v43, v53, v61 dst_sel:DWORD dst_unused:UNUSED_PAD src0_sel:DWORD src1_sel:WORD_1
	v_fmac_f16_e32 v44, v61, v53
	v_lshl_add_u32 v53, v54, 2, 0
	s_waitcnt lgkmcnt(1)
	v_lshrrev_b32_e32 v27, 16, v63
	s_waitcnt lgkmcnt(0)
	v_mul_f16_sdwa v54, v63, v62 dst_sel:DWORD dst_unused:UNUSED_PAD src0_sel:DWORD src1_sel:WORD_1
	v_add_nc_u32_e32 v47, s7, v47
	ds_read_b32 v33, v33 offset:256
	ds_read_b32 v53, v53 offset:5324
	v_lshrrev_b32_e32 v45, 8, v45
	v_mul_f16_sdwa v52, v27, v62 dst_sel:DWORD dst_unused:UNUSED_PAD src0_sel:DWORD src1_sel:WORD_1
	v_fmac_f16_e32 v54, v27, v62
	v_lshrrev_b32_e32 v27, 3, v46
	ds_read_b32 v47, v47 offset:128
	v_lshrrev_b32_e32 v55, 8, v46
	v_and_b32_e32 v45, 0x7c, v45
	v_and_b32_e32 v46, 31, v46
	;; [unrolled: 1-line block ×5, first 2 shown]
	v_add_nc_u32_e32 v45, s7, v45
	v_lshl_add_u32 v46, v46, 2, 0
	v_add_nc_u32_e32 v27, s7, v27
	v_lshl_add_u32 v56, v56, 2, 0
	v_add_nc_u32_e32 v55, s7, v55
	ds_read_b32 v45, v45 offset:256
	ds_read_b32 v46, v46 offset:5324
	;; [unrolled: 1-line block ×5, first 2 shown]
	v_add_f16_e32 v10, v57, v10
	v_fma_f16 v52, v63, v62, -v52
	s_waitcnt lgkmcnt(6)
	v_lshrrev_b32_e32 v57, 16, v53
	v_add_f16_e32 v51, v58, v51
	v_fma_f16 v4, v61, v4, -v43
	v_mul_f16_sdwa v43, v54, v33 dst_sel:DWORD dst_unused:UNUSED_PAD src0_sel:DWORD src1_sel:WORD_1
	v_mul_f16_sdwa v58, v52, v33 dst_sel:DWORD dst_unused:UNUSED_PAD src0_sel:DWORD src1_sel:WORD_1
	s_waitcnt lgkmcnt(5)
	v_mul_f16_sdwa v60, v57, v47 dst_sel:DWORD dst_unused:UNUSED_PAD src0_sel:DWORD src1_sel:WORD_1
	v_add_f16_e32 v48, v59, v48
	v_mul_f16_e32 v59, v7, v44
	v_mul_f16_e32 v44, v3, v44
	v_fmac_f16_e32 v58, v33, v54
	v_fma_f16 v33, v33, v52, -v43
	v_mul_f16_sdwa v43, v53, v47 dst_sel:DWORD dst_unused:UNUSED_PAD src0_sel:DWORD src1_sel:WORD_1
	v_fma_f16 v52, v53, v47, -v60
	v_fmac_f16_e32 v59, v3, v4
	v_fma_f16 v3, v7, v4, -v44
	s_waitcnt lgkmcnt(3)
	v_lshrrev_b32_e32 v7, 16, v46
	v_fmac_f16_e32 v43, v57, v47
	v_mul_f16_sdwa v4, v52, v45 dst_sel:DWORD dst_unused:UNUSED_PAD src0_sel:DWORD src1_sel:WORD_1
	v_mul_f16_e32 v53, v9, v58
	s_waitcnt lgkmcnt(0)
	v_lshrrev_b32_e32 v54, 16, v56
	v_mul_f16_sdwa v47, v7, v27 dst_sel:DWORD dst_unused:UNUSED_PAD src0_sel:DWORD src1_sel:WORD_1
	v_mul_f16_sdwa v44, v43, v45 dst_sel:DWORD dst_unused:UNUSED_PAD src0_sel:DWORD src1_sel:WORD_1
	v_fmac_f16_e32 v4, v45, v43
	v_mul_f16_sdwa v43, v46, v27 dst_sel:DWORD dst_unused:UNUSED_PAD src0_sel:DWORD src1_sel:WORD_1
	v_fmac_f16_e32 v53, v41, v33
	v_mul_f16_e32 v41, v41, v58
	v_pack_b32_f16 v1, v49, v1
	v_pack_b32_f16 v3, v59, v3
	v_fmac_f16_e32 v43, v7, v27
	v_fma_f16 v7, v46, v27, -v47
	v_lshrrev_b32_e32 v27, 3, v32
	v_lshrrev_b32_e32 v32, 8, v32
	v_fma_f16 v9, v9, v33, -v41
	v_fma_f16 v33, v45, v52, -v44
	v_mul_f16_sdwa v45, v7, v55 dst_sel:DWORD dst_unused:UNUSED_PAD src0_sel:DWORD src1_sel:WORD_1
	v_and_b32_e32 v27, 0x7c, v27
	v_and_b32_e32 v32, 0x7c, v32
	v_and_b32_e32 v46, 31, v31
	v_lshrrev_b32_e32 v47, 3, v31
	v_mul_f16_sdwa v44, v43, v55 dst_sel:DWORD dst_unused:UNUSED_PAD src0_sel:DWORD src1_sel:WORD_1
	v_add_nc_u32_e32 v27, s7, v27
	v_fmac_f16_e32 v45, v55, v43
	v_add_nc_u32_e32 v32, s7, v32
	v_lshl_add_u32 v43, v46, 2, 0
	v_and_b32_e32 v46, 0x7c, v47
	ds_read_b32 v27, v27 offset:128
	ds_read_b32 v32, v32 offset:256
	ds_read_b32 v43, v43 offset:5324
	v_lshrrev_b32_e32 v31, 8, v31
	v_add_nc_u32_e32 v46, s7, v46
	v_lshrrev_b32_e32 v47, 3, v30
	v_lshrrev_b32_e32 v52, 8, v30
	v_and_b32_e32 v30, 31, v30
	v_and_b32_e32 v31, 0x7c, v31
	ds_read_b32 v46, v46 offset:128
	v_and_b32_e32 v47, 0x7c, v47
	v_and_b32_e32 v52, 0x7c, v52
	v_lshl_add_u32 v30, v30, 2, 0
	v_add_nc_u32_e32 v31, s7, v31
	v_mul_f16_e32 v41, v38, v4
	v_add_nc_u32_e32 v47, s7, v47
	v_fma_f16 v7, v55, v7, -v44
	v_add_nc_u32_e32 v52, s7, v52
	ds_read_b32 v31, v31 offset:256
	ds_read_b32 v30, v30 offset:5324
	;; [unrolled: 1-line block ×4, first 2 shown]
	s_waitcnt lgkmcnt(7)
	v_mul_f16_sdwa v57, v54, v27 dst_sel:DWORD dst_unused:UNUSED_PAD src0_sel:DWORD src1_sel:WORD_1
	v_mul_f16_sdwa v55, v56, v27 dst_sel:DWORD dst_unused:UNUSED_PAD src0_sel:DWORD src1_sel:WORD_1
	v_mul_f16_e32 v4, v36, v4
	v_mul_f16_e32 v44, v48, v45
	v_fmac_f16_e32 v41, v36, v33
	v_fma_f16 v36, v56, v27, -v57
	v_fmac_f16_e32 v55, v54, v27
	s_waitcnt lgkmcnt(5)
	v_lshrrev_b32_e32 v27, 16, v43
	v_fma_f16 v4, v38, v33, -v4
	v_fmac_f16_e32 v44, v51, v7
	v_mul_f16_sdwa v33, v36, v32 dst_sel:DWORD dst_unused:UNUSED_PAD src0_sel:DWORD src1_sel:WORD_1
	v_mul_f16_e32 v38, v51, v45
	s_waitcnt lgkmcnt(4)
	v_mul_f16_sdwa v45, v43, v46 dst_sel:DWORD dst_unused:UNUSED_PAD src0_sel:DWORD src1_sel:WORD_1
	v_mul_f16_sdwa v51, v55, v32 dst_sel:DWORD dst_unused:UNUSED_PAD src0_sel:DWORD src1_sel:WORD_1
	;; [unrolled: 1-line block ×3, first 2 shown]
	v_fmac_f16_e32 v33, v32, v55
	v_fma_f16 v7, v48, v7, -v38
	v_fmac_f16_e32 v45, v27, v46
	v_fma_f16 v27, v32, v36, -v51
	v_fma_f16 v32, v43, v46, -v54
	v_mul_f16_e32 v36, v10, v33
	v_mul_f16_e32 v33, v40, v33
	s_waitcnt lgkmcnt(3)
	v_mul_f16_sdwa v38, v45, v31 dst_sel:DWORD dst_unused:UNUSED_PAD src0_sel:DWORD src1_sel:WORD_1
	s_waitcnt lgkmcnt(2)
	v_lshrrev_b32_e32 v43, 16, v30
	v_mul_f16_sdwa v46, v32, v31 dst_sel:DWORD dst_unused:UNUSED_PAD src0_sel:DWORD src1_sel:WORD_1
	v_fmac_f16_e32 v36, v40, v27
	v_fma_f16 v10, v10, v27, -v33
	v_fma_f16 v27, v31, v32, -v38
	v_lshrrev_b32_e32 v33, 8, v26
	v_fmac_f16_e32 v46, v31, v45
	v_lshrrev_b32_e32 v31, 3, v26
	v_and_b32_e32 v26, 31, v26
	s_waitcnt lgkmcnt(1)
	v_mul_f16_sdwa v38, v30, v47 dst_sel:DWORD dst_unused:UNUSED_PAD src0_sel:DWORD src1_sel:WORD_1
	v_mul_f16_sdwa v32, v43, v47 dst_sel:DWORD dst_unused:UNUSED_PAD src0_sel:DWORD src1_sel:WORD_1
	v_lshrrev_b32_e32 v40, 3, v28
	v_and_b32_e32 v31, 0x7c, v31
	v_lshl_add_u32 v26, v26, 2, 0
	v_fmac_f16_e32 v38, v43, v47
	v_lshrrev_b32_e32 v43, 8, v28
	v_fma_f16 v30, v30, v47, -v32
	v_add_nc_u32_e32 v31, s7, v31
	ds_read_b32 v26, v26 offset:5324
	v_and_b32_e32 v32, 0x7c, v33
	v_and_b32_e32 v28, 31, v28
	v_lshrrev_b32_e32 v45, 3, v29
	ds_read_b32 v31, v31 offset:128
	v_and_b32_e32 v40, 0x7c, v40
	v_and_b32_e32 v43, 0x7c, v43
	;; [unrolled: 1-line block ×3, first 2 shown]
	v_add_nc_u32_e32 v32, s7, v32
	v_lshl_add_u32 v28, v28, 2, 0
	v_and_b32_e32 v45, 0x7c, v45
	v_add_nc_u32_e32 v40, s7, v40
	v_add_nc_u32_e32 v43, s7, v43
	v_lshl_add_u32 v29, v29, 2, 0
	ds_read_b32 v32, v32 offset:256
	ds_read_b32 v28, v28 offset:5324
	;; [unrolled: 1-line block ×5, first 2 shown]
	v_add_nc_u32_e32 v45, s7, v45
	s_waitcnt lgkmcnt(7)
	v_mul_f16_sdwa v33, v30, v52 dst_sel:DWORD dst_unused:UNUSED_PAD src0_sel:DWORD src1_sel:WORD_1
	v_mul_f16_sdwa v47, v38, v52 dst_sel:DWORD dst_unused:UNUSED_PAD src0_sel:DWORD src1_sel:WORD_1
	v_mul_f16_e32 v51, v2, v46
	ds_read_b32 v45, v45 offset:128
	s_waitcnt lgkmcnt(7)
	v_lshrrev_b32_e32 v48, 16, v26
	v_fmac_f16_e32 v33, v52, v38
	v_mul_f16_e32 v38, v0, v46
	v_fma_f16 v30, v52, v30, -v47
	s_waitcnt lgkmcnt(6)
	v_mul_f16_sdwa v47, v26, v31 dst_sel:DWORD dst_unused:UNUSED_PAD src0_sel:DWORD src1_sel:WORD_1
	v_mul_f16_sdwa v46, v48, v31 dst_sel:DWORD dst_unused:UNUSED_PAD src0_sel:DWORD src1_sel:WORD_1
	v_mul_f16_e32 v52, v42, v33
	v_fmac_f16_e32 v51, v0, v27
	v_fma_f16 v0, v2, v27, -v38
	v_fmac_f16_e32 v47, v48, v31
	v_fma_f16 v2, v26, v31, -v46
	v_mul_f16_e32 v26, v39, v33
	s_waitcnt lgkmcnt(4)
	v_lshrrev_b32_e32 v27, 16, v28
	v_fmac_f16_e32 v52, v39, v30
	v_mul_f16_sdwa v33, v47, v32 dst_sel:DWORD dst_unused:UNUSED_PAD src0_sel:DWORD src1_sel:WORD_1
	v_mul_f16_sdwa v31, v2, v32 dst_sel:DWORD dst_unused:UNUSED_PAD src0_sel:DWORD src1_sel:WORD_1
	s_waitcnt lgkmcnt(1)
	v_lshrrev_b32_e32 v38, 16, v29
	v_fma_f16 v26, v42, v30, -v26
	v_mul_f16_sdwa v30, v27, v40 dst_sel:DWORD dst_unused:UNUSED_PAD src0_sel:DWORD src1_sel:WORD_1
	v_fma_f16 v2, v32, v2, -v33
	v_fmac_f16_e32 v31, v32, v47
	s_waitcnt lgkmcnt(0)
	v_mul_f16_sdwa v32, v38, v45 dst_sel:DWORD dst_unused:UNUSED_PAD src0_sel:DWORD src1_sel:WORD_1
	v_mul_f16_sdwa v33, v28, v40 dst_sel:DWORD dst_unused:UNUSED_PAD src0_sel:DWORD src1_sel:WORD_1
	v_fma_f16 v28, v28, v40, -v30
	v_mul_f16_sdwa v39, v29, v45 dst_sel:DWORD dst_unused:UNUSED_PAD src0_sel:DWORD src1_sel:WORD_1
	v_mul_f16_e32 v30, v50, v31
	v_fma_f16 v29, v29, v45, -v32
	v_fmac_f16_e32 v33, v27, v40
	v_mul_f16_sdwa v27, v28, v43 dst_sel:DWORD dst_unused:UNUSED_PAD src0_sel:DWORD src1_sel:WORD_1
	v_fmac_f16_e32 v39, v38, v45
	v_fmac_f16_e32 v30, v37, v2
	v_mul_f16_sdwa v32, v29, v25 dst_sel:DWORD dst_unused:UNUSED_PAD src0_sel:DWORD src1_sel:WORD_1
	v_mul_f16_sdwa v38, v33, v43 dst_sel:DWORD dst_unused:UNUSED_PAD src0_sel:DWORD src1_sel:WORD_1
	v_fmac_f16_e32 v27, v43, v33
	v_mul_f16_e32 v31, v37, v31
	v_mul_f16_sdwa v33, v39, v25 dst_sel:DWORD dst_unused:UNUSED_PAD src0_sel:DWORD src1_sel:WORD_1
	v_fmac_f16_e32 v32, v25, v39
	v_fma_f16 v28, v43, v28, -v38
	v_mul_f16_e32 v37, v35, v27
	v_mul_f16_e32 v27, v5, v27
	v_fma_f16 v25, v25, v29, -v33
	v_mul_f16_e32 v29, v34, v32
	v_fma_f16 v2, v50, v2, -v31
	v_fmac_f16_e32 v37, v5, v28
	v_mul_f16_e32 v5, v6, v32
	v_fma_f16 v27, v35, v28, -v27
	v_fmac_f16_e32 v29, v6, v25
	s_barrier
	v_fma_f16 v5, v34, v25, -v5
	buffer_gl0_inv
	ds_write2_b32 v8, v1, v3 offset1:11
	v_pack_b32_f16 v1, v53, v9
	v_pack_b32_f16 v3, v41, v4
	;; [unrolled: 1-line block ×9, first 2 shown]
	ds_write2_b32 v8, v1, v3 offset0:22 offset1:33
	ds_write2_b32 v8, v4, v6 offset0:44 offset1:55
	;; [unrolled: 1-line block ×4, first 2 shown]
	ds_write_b32 v8, v5 offset:440
	s_waitcnt lgkmcnt(0)
	s_barrier
	buffer_gl0_inv
	s_and_saveexec_b32 s7, s6
	s_cbranch_execz .LBB0_18
; %bb.17:
	v_mad_u64_u32 v[0:1], null, s2, v22, 0
	v_mad_u64_u32 v[2:3], null, s0, v19, 0
	;; [unrolled: 1-line block ×3, first 2 shown]
	s_lshl_b64 s[4:5], s[4:5], 2
	v_add3_u32 v26, 0, v24, v23
	s_add_u32 s2, s8, s4
	v_mad_u64_u32 v[6:7], null, s3, v22, v[1:2]
	v_mad_u64_u32 v[7:8], null, s0, v21, 0
	;; [unrolled: 1-line block ×3, first 2 shown]
	s_addc_u32 s3, s9, s5
	v_mad_u64_u32 v[22:23], null, s0, v17, 0
	v_mov_b32_e32 v1, v6
	v_mov_b32_e32 v6, v8
	;; [unrolled: 1-line block ×3, first 2 shown]
	v_lshlrev_b64 v[0:1], 2, v[0:1]
	v_mad_u64_u32 v[8:9], null, s1, v20, v[5:6]
	v_lshlrev_b64 v[2:3], 2, v[2:3]
	v_mad_u64_u32 v[9:10], null, s1, v21, v[6:7]
	v_add_co_u32 v21, vcc_lo, s2, v0
	v_add_co_ci_u32_e32 v27, vcc_lo, s3, v1, vcc_lo
	v_mov_b32_e32 v5, v8
	v_add_co_u32 v0, vcc_lo, v21, v2
	v_add_co_ci_u32_e32 v1, vcc_lo, v27, v3, vcc_lo
	ds_read2_b32 v[2:3], v26 offset1:11
	v_lshlrev_b64 v[4:5], 2, v[4:5]
	v_mov_b32_e32 v8, v9
	v_mad_u64_u32 v[19:20], null, s0, v18, 0
	ds_read2_b32 v[9:10], v26 offset0:22 offset1:33
	v_mov_b32_e32 v6, v23
	v_add_co_u32 v4, vcc_lo, v21, v4
	v_add_co_ci_u32_e32 v5, vcc_lo, v27, v5, vcc_lo
	v_lshlrev_b64 v[7:8], 2, v[7:8]
	s_waitcnt lgkmcnt(1)
	global_store_dword v[0:1], v2, off
	global_store_dword v[4:5], v3, off
	ds_read2_b32 v[1:2], v26 offset0:44 offset1:55
	v_mad_u64_u32 v[23:24], null, s1, v17, v[6:7]
	v_mad_u64_u32 v[17:18], null, s1, v18, v[20:21]
	;; [unrolled: 1-line block ×3, first 2 shown]
	v_add_co_u32 v6, vcc_lo, v21, v7
	v_add_co_ci_u32_e32 v7, vcc_lo, v27, v8, vcc_lo
	v_mov_b32_e32 v20, v17
	v_lshlrev_b64 v[3:4], 2, v[22:23]
	v_mov_b32_e32 v0, v25
	s_waitcnt lgkmcnt(1)
	global_store_dword v[6:7], v9, off
	v_lshlrev_b64 v[5:6], 2, v[19:20]
	v_mad_u64_u32 v[18:19], null, s0, v12, 0
	v_add_co_u32 v3, vcc_lo, v21, v3
	s_waitcnt lgkmcnt(0)
	v_mad_u64_u32 v[7:8], null, s1, v16, v[0:1]
	v_mad_u64_u32 v[8:9], null, s0, v15, 0
	v_add_co_ci_u32_e32 v4, vcc_lo, v27, v4, vcc_lo
	v_add_co_u32 v5, vcc_lo, v21, v5
	v_mad_u64_u32 v[16:17], null, s0, v14, 0
	v_add_co_ci_u32_e32 v6, vcc_lo, v27, v6, vcc_lo
	v_mov_b32_e32 v25, v7
	v_mov_b32_e32 v0, v9
	global_store_dword v[3:4], v10, off
	global_store_dword v[5:6], v1, off
	v_mad_u64_u32 v[5:6], null, s0, v13, 0
	v_lshlrev_b64 v[3:4], 2, v[24:25]
	v_mad_u64_u32 v[0:1], null, s1, v15, v[0:1]
	v_mov_b32_e32 v1, v17
	v_mov_b32_e32 v7, v19
	v_add_co_u32 v3, vcc_lo, v21, v3
	v_mad_u64_u32 v[14:15], null, s1, v14, v[1:2]
	v_mov_b32_e32 v1, v6
	v_add_co_ci_u32_e32 v4, vcc_lo, v27, v4, vcc_lo
	v_mov_b32_e32 v9, v0
	v_mad_u64_u32 v[0:1], null, s1, v13, v[1:2]
	global_store_dword v[3:4], v2, off
	ds_read2_b32 v[1:2], v26 offset0:66 offset1:77
	v_lshlrev_b64 v[3:4], 2, v[8:9]
	v_mad_u64_u32 v[8:9], null, s0, v11, 0
	v_mov_b32_e32 v17, v14
	v_mov_b32_e32 v6, v0
	v_add_co_u32 v3, vcc_lo, v21, v3
	v_add_co_ci_u32_e32 v4, vcc_lo, v27, v4, vcc_lo
	v_mov_b32_e32 v0, v9
	v_mad_u64_u32 v[12:13], null, s1, v12, v[7:8]
	v_lshlrev_b64 v[9:10], 2, v[16:17]
	ds_read2_b32 v[13:14], v26 offset0:88 offset1:99
	v_lshlrev_b64 v[5:6], 2, v[5:6]
	s_waitcnt lgkmcnt(1)
	v_mad_u64_u32 v[15:16], null, s1, v11, v[0:1]
	v_mov_b32_e32 v19, v12
	ds_read_b32 v0, v26 offset:440
	v_add_co_u32 v11, vcc_lo, v21, v9
	v_add_co_ci_u32_e32 v12, vcc_lo, v27, v10, vcc_lo
	v_mov_b32_e32 v9, v15
	v_lshlrev_b64 v[16:17], 2, v[18:19]
	v_add_co_u32 v5, vcc_lo, v21, v5
	v_add_co_ci_u32_e32 v6, vcc_lo, v27, v6, vcc_lo
	v_lshlrev_b64 v[7:8], 2, v[8:9]
	v_add_co_u32 v9, vcc_lo, v21, v16
	v_add_co_ci_u32_e32 v10, vcc_lo, v27, v17, vcc_lo
	v_add_co_u32 v7, vcc_lo, v21, v7
	v_add_co_ci_u32_e32 v8, vcc_lo, v27, v8, vcc_lo
	global_store_dword v[3:4], v1, off
	global_store_dword v[11:12], v2, off
	s_waitcnt lgkmcnt(1)
	global_store_dword v[5:6], v13, off
	global_store_dword v[9:10], v14, off
	s_waitcnt lgkmcnt(0)
	global_store_dword v[7:8], v0, off
.LBB0_18:
	s_endpgm
	.section	.rodata,"a",@progbits
	.p2align	6, 0x0
	.amdhsa_kernel fft_rtc_back_len121_factors_11_11_wgs_121_tpt_11_half_ip_CI_sbcc_twdbase5_3step
		.amdhsa_group_segment_fixed_size 0
		.amdhsa_private_segment_fixed_size 0
		.amdhsa_kernarg_size 96
		.amdhsa_user_sgpr_count 6
		.amdhsa_user_sgpr_private_segment_buffer 1
		.amdhsa_user_sgpr_dispatch_ptr 0
		.amdhsa_user_sgpr_queue_ptr 0
		.amdhsa_user_sgpr_kernarg_segment_ptr 1
		.amdhsa_user_sgpr_dispatch_id 0
		.amdhsa_user_sgpr_flat_scratch_init 0
		.amdhsa_user_sgpr_private_segment_size 0
		.amdhsa_wavefront_size32 1
		.amdhsa_uses_dynamic_stack 0
		.amdhsa_system_sgpr_private_segment_wavefront_offset 0
		.amdhsa_system_sgpr_workgroup_id_x 1
		.amdhsa_system_sgpr_workgroup_id_y 0
		.amdhsa_system_sgpr_workgroup_id_z 0
		.amdhsa_system_sgpr_workgroup_info 0
		.amdhsa_system_vgpr_workitem_id 0
		.amdhsa_next_free_vgpr 80
		.amdhsa_next_free_sgpr 44
		.amdhsa_reserve_vcc 1
		.amdhsa_reserve_flat_scratch 0
		.amdhsa_float_round_mode_32 0
		.amdhsa_float_round_mode_16_64 0
		.amdhsa_float_denorm_mode_32 3
		.amdhsa_float_denorm_mode_16_64 3
		.amdhsa_dx10_clamp 1
		.amdhsa_ieee_mode 1
		.amdhsa_fp16_overflow 0
		.amdhsa_workgroup_processor_mode 1
		.amdhsa_memory_ordered 1
		.amdhsa_forward_progress 0
		.amdhsa_shared_vgpr_count 0
		.amdhsa_exception_fp_ieee_invalid_op 0
		.amdhsa_exception_fp_denorm_src 0
		.amdhsa_exception_fp_ieee_div_zero 0
		.amdhsa_exception_fp_ieee_overflow 0
		.amdhsa_exception_fp_ieee_underflow 0
		.amdhsa_exception_fp_ieee_inexact 0
		.amdhsa_exception_int_div_zero 0
	.end_amdhsa_kernel
	.text
.Lfunc_end0:
	.size	fft_rtc_back_len121_factors_11_11_wgs_121_tpt_11_half_ip_CI_sbcc_twdbase5_3step, .Lfunc_end0-fft_rtc_back_len121_factors_11_11_wgs_121_tpt_11_half_ip_CI_sbcc_twdbase5_3step
                                        ; -- End function
	.section	.AMDGPU.csdata,"",@progbits
; Kernel info:
; codeLenInByte = 10036
; NumSgprs: 46
; NumVgprs: 80
; ScratchSize: 0
; MemoryBound: 0
; FloatMode: 240
; IeeeMode: 1
; LDSByteSize: 0 bytes/workgroup (compile time only)
; SGPRBlocks: 5
; VGPRBlocks: 9
; NumSGPRsForWavesPerEU: 46
; NumVGPRsForWavesPerEU: 80
; Occupancy: 12
; WaveLimiterHint : 1
; COMPUTE_PGM_RSRC2:SCRATCH_EN: 0
; COMPUTE_PGM_RSRC2:USER_SGPR: 6
; COMPUTE_PGM_RSRC2:TRAP_HANDLER: 0
; COMPUTE_PGM_RSRC2:TGID_X_EN: 1
; COMPUTE_PGM_RSRC2:TGID_Y_EN: 0
; COMPUTE_PGM_RSRC2:TGID_Z_EN: 0
; COMPUTE_PGM_RSRC2:TIDIG_COMP_CNT: 0
	.text
	.p2alignl 6, 3214868480
	.fill 48, 4, 3214868480
	.type	__hip_cuid_449063e99fd2235c,@object ; @__hip_cuid_449063e99fd2235c
	.section	.bss,"aw",@nobits
	.globl	__hip_cuid_449063e99fd2235c
__hip_cuid_449063e99fd2235c:
	.byte	0                               ; 0x0
	.size	__hip_cuid_449063e99fd2235c, 1

	.ident	"AMD clang version 19.0.0git (https://github.com/RadeonOpenCompute/llvm-project roc-6.4.0 25133 c7fe45cf4b819c5991fe208aaa96edf142730f1d)"
	.section	".note.GNU-stack","",@progbits
	.addrsig
	.addrsig_sym __hip_cuid_449063e99fd2235c
	.amdgpu_metadata
---
amdhsa.kernels:
  - .args:
      - .actual_access:  read_only
        .address_space:  global
        .offset:         0
        .size:           8
        .value_kind:     global_buffer
      - .address_space:  global
        .offset:         8
        .size:           8
        .value_kind:     global_buffer
      - .offset:         16
        .size:           8
        .value_kind:     by_value
      - .actual_access:  read_only
        .address_space:  global
        .offset:         24
        .size:           8
        .value_kind:     global_buffer
      - .actual_access:  read_only
        .address_space:  global
        .offset:         32
        .size:           8
        .value_kind:     global_buffer
      - .offset:         40
        .size:           8
        .value_kind:     by_value
      - .actual_access:  read_only
        .address_space:  global
        .offset:         48
        .size:           8
        .value_kind:     global_buffer
      - .actual_access:  read_only
        .address_space:  global
        .offset:         56
        .size:           8
        .value_kind:     global_buffer
      - .offset:         64
        .size:           4
        .value_kind:     by_value
      - .actual_access:  read_only
        .address_space:  global
        .offset:         72
        .size:           8
        .value_kind:     global_buffer
      - .actual_access:  read_only
        .address_space:  global
        .offset:         80
        .size:           8
        .value_kind:     global_buffer
      - .address_space:  global
        .offset:         88
        .size:           8
        .value_kind:     global_buffer
    .group_segment_fixed_size: 0
    .kernarg_segment_align: 8
    .kernarg_segment_size: 96
    .language:       OpenCL C
    .language_version:
      - 2
      - 0
    .max_flat_workgroup_size: 121
    .name:           fft_rtc_back_len121_factors_11_11_wgs_121_tpt_11_half_ip_CI_sbcc_twdbase5_3step
    .private_segment_fixed_size: 0
    .sgpr_count:     46
    .sgpr_spill_count: 0
    .symbol:         fft_rtc_back_len121_factors_11_11_wgs_121_tpt_11_half_ip_CI_sbcc_twdbase5_3step.kd
    .uniform_work_group_size: 1
    .uses_dynamic_stack: false
    .vgpr_count:     80
    .vgpr_spill_count: 0
    .wavefront_size: 32
    .workgroup_processor_mode: 1
amdhsa.target:   amdgcn-amd-amdhsa--gfx1030
amdhsa.version:
  - 1
  - 2
...

	.end_amdgpu_metadata
